;; amdgpu-corpus repo=ROCm/rocFFT kind=compiled arch=gfx1100 opt=O3
	.text
	.amdgcn_target "amdgcn-amd-amdhsa--gfx1100"
	.amdhsa_code_object_version 6
	.protected	fft_rtc_fwd_len1960_factors_4_7_2_7_5_wgs_56_tpt_56_halfLds_dp_ip_CI_unitstride_sbrr_dirReg ; -- Begin function fft_rtc_fwd_len1960_factors_4_7_2_7_5_wgs_56_tpt_56_halfLds_dp_ip_CI_unitstride_sbrr_dirReg
	.globl	fft_rtc_fwd_len1960_factors_4_7_2_7_5_wgs_56_tpt_56_halfLds_dp_ip_CI_unitstride_sbrr_dirReg
	.p2align	8
	.type	fft_rtc_fwd_len1960_factors_4_7_2_7_5_wgs_56_tpt_56_halfLds_dp_ip_CI_unitstride_sbrr_dirReg,@function
fft_rtc_fwd_len1960_factors_4_7_2_7_5_wgs_56_tpt_56_halfLds_dp_ip_CI_unitstride_sbrr_dirReg: ; @fft_rtc_fwd_len1960_factors_4_7_2_7_5_wgs_56_tpt_56_halfLds_dp_ip_CI_unitstride_sbrr_dirReg
; %bb.0:
	s_clause 0x2
	s_load_b128 s[4:7], s[0:1], 0x0
	s_load_b64 s[8:9], s[0:1], 0x50
	s_load_b64 s[10:11], s[0:1], 0x18
	v_mul_u32_u24_e32 v1, 0x493, v0
	v_mov_b32_e32 v3, 0
	v_mov_b32_e32 v4, 0
	s_delay_alu instid0(VALU_DEP_3) | instskip(SKIP_1) | instid1(VALU_DEP_1)
	v_lshrrev_b32_e32 v2, 16, v1
	v_mov_b32_e32 v1, 0
	v_dual_mov_b32 v6, v1 :: v_dual_add_nc_u32 v5, s15, v2
	s_waitcnt lgkmcnt(0)
	v_cmp_lt_u64_e64 s2, s[6:7], 2
	s_delay_alu instid0(VALU_DEP_1)
	s_and_b32 vcc_lo, exec_lo, s2
	s_cbranch_vccnz .LBB0_8
; %bb.1:
	s_load_b64 s[2:3], s[0:1], 0x10
	v_mov_b32_e32 v3, 0
	s_add_u32 s12, s10, 8
	v_mov_b32_e32 v4, 0
	s_addc_u32 s13, s11, 0
	s_mov_b64 s[16:17], 1
	s_waitcnt lgkmcnt(0)
	s_add_u32 s14, s2, 8
	s_addc_u32 s15, s3, 0
.LBB0_2:                                ; =>This Inner Loop Header: Depth=1
	s_load_b64 s[18:19], s[14:15], 0x0
                                        ; implicit-def: $vgpr7_vgpr8
	s_mov_b32 s2, exec_lo
	s_waitcnt lgkmcnt(0)
	v_or_b32_e32 v2, s19, v6
	s_delay_alu instid0(VALU_DEP_1)
	v_cmpx_ne_u64_e32 0, v[1:2]
	s_xor_b32 s3, exec_lo, s2
	s_cbranch_execz .LBB0_4
; %bb.3:                                ;   in Loop: Header=BB0_2 Depth=1
	v_cvt_f32_u32_e32 v2, s18
	v_cvt_f32_u32_e32 v7, s19
	s_sub_u32 s2, 0, s18
	s_subb_u32 s20, 0, s19
	s_delay_alu instid0(VALU_DEP_1) | instskip(NEXT) | instid1(VALU_DEP_1)
	v_fmac_f32_e32 v2, 0x4f800000, v7
	v_rcp_f32_e32 v2, v2
	s_waitcnt_depctr 0xfff
	v_mul_f32_e32 v2, 0x5f7ffffc, v2
	s_delay_alu instid0(VALU_DEP_1) | instskip(NEXT) | instid1(VALU_DEP_1)
	v_mul_f32_e32 v7, 0x2f800000, v2
	v_trunc_f32_e32 v7, v7
	s_delay_alu instid0(VALU_DEP_1) | instskip(SKIP_1) | instid1(VALU_DEP_2)
	v_fmac_f32_e32 v2, 0xcf800000, v7
	v_cvt_u32_f32_e32 v7, v7
	v_cvt_u32_f32_e32 v2, v2
	s_delay_alu instid0(VALU_DEP_2) | instskip(NEXT) | instid1(VALU_DEP_2)
	v_mul_lo_u32 v8, s2, v7
	v_mul_hi_u32 v9, s2, v2
	v_mul_lo_u32 v10, s20, v2
	s_delay_alu instid0(VALU_DEP_2) | instskip(SKIP_1) | instid1(VALU_DEP_2)
	v_add_nc_u32_e32 v8, v9, v8
	v_mul_lo_u32 v9, s2, v2
	v_add_nc_u32_e32 v8, v8, v10
	s_delay_alu instid0(VALU_DEP_2) | instskip(NEXT) | instid1(VALU_DEP_2)
	v_mul_hi_u32 v10, v2, v9
	v_mul_lo_u32 v11, v2, v8
	v_mul_hi_u32 v12, v2, v8
	v_mul_hi_u32 v13, v7, v9
	v_mul_lo_u32 v9, v7, v9
	v_mul_hi_u32 v14, v7, v8
	v_mul_lo_u32 v8, v7, v8
	v_add_co_u32 v10, vcc_lo, v10, v11
	v_add_co_ci_u32_e32 v11, vcc_lo, 0, v12, vcc_lo
	s_delay_alu instid0(VALU_DEP_2) | instskip(NEXT) | instid1(VALU_DEP_2)
	v_add_co_u32 v9, vcc_lo, v10, v9
	v_add_co_ci_u32_e32 v9, vcc_lo, v11, v13, vcc_lo
	v_add_co_ci_u32_e32 v10, vcc_lo, 0, v14, vcc_lo
	s_delay_alu instid0(VALU_DEP_2) | instskip(NEXT) | instid1(VALU_DEP_2)
	v_add_co_u32 v8, vcc_lo, v9, v8
	v_add_co_ci_u32_e32 v9, vcc_lo, 0, v10, vcc_lo
	s_delay_alu instid0(VALU_DEP_2) | instskip(NEXT) | instid1(VALU_DEP_2)
	v_add_co_u32 v2, vcc_lo, v2, v8
	v_add_co_ci_u32_e32 v7, vcc_lo, v7, v9, vcc_lo
	s_delay_alu instid0(VALU_DEP_2) | instskip(SKIP_1) | instid1(VALU_DEP_3)
	v_mul_hi_u32 v8, s2, v2
	v_mul_lo_u32 v10, s20, v2
	v_mul_lo_u32 v9, s2, v7
	s_delay_alu instid0(VALU_DEP_1) | instskip(SKIP_1) | instid1(VALU_DEP_2)
	v_add_nc_u32_e32 v8, v8, v9
	v_mul_lo_u32 v9, s2, v2
	v_add_nc_u32_e32 v8, v8, v10
	s_delay_alu instid0(VALU_DEP_2) | instskip(NEXT) | instid1(VALU_DEP_2)
	v_mul_hi_u32 v10, v2, v9
	v_mul_lo_u32 v11, v2, v8
	v_mul_hi_u32 v12, v2, v8
	v_mul_hi_u32 v13, v7, v9
	v_mul_lo_u32 v9, v7, v9
	v_mul_hi_u32 v14, v7, v8
	v_mul_lo_u32 v8, v7, v8
	v_add_co_u32 v10, vcc_lo, v10, v11
	v_add_co_ci_u32_e32 v11, vcc_lo, 0, v12, vcc_lo
	s_delay_alu instid0(VALU_DEP_2) | instskip(NEXT) | instid1(VALU_DEP_2)
	v_add_co_u32 v9, vcc_lo, v10, v9
	v_add_co_ci_u32_e32 v9, vcc_lo, v11, v13, vcc_lo
	v_add_co_ci_u32_e32 v10, vcc_lo, 0, v14, vcc_lo
	s_delay_alu instid0(VALU_DEP_2) | instskip(NEXT) | instid1(VALU_DEP_2)
	v_add_co_u32 v8, vcc_lo, v9, v8
	v_add_co_ci_u32_e32 v9, vcc_lo, 0, v10, vcc_lo
	s_delay_alu instid0(VALU_DEP_2) | instskip(NEXT) | instid1(VALU_DEP_2)
	v_add_co_u32 v2, vcc_lo, v2, v8
	v_add_co_ci_u32_e32 v13, vcc_lo, v7, v9, vcc_lo
	s_delay_alu instid0(VALU_DEP_2) | instskip(SKIP_1) | instid1(VALU_DEP_3)
	v_mul_hi_u32 v14, v5, v2
	v_mad_u64_u32 v[9:10], null, v6, v2, 0
	v_mad_u64_u32 v[7:8], null, v5, v13, 0
	;; [unrolled: 1-line block ×3, first 2 shown]
	s_delay_alu instid0(VALU_DEP_2) | instskip(NEXT) | instid1(VALU_DEP_3)
	v_add_co_u32 v2, vcc_lo, v14, v7
	v_add_co_ci_u32_e32 v7, vcc_lo, 0, v8, vcc_lo
	s_delay_alu instid0(VALU_DEP_2) | instskip(NEXT) | instid1(VALU_DEP_2)
	v_add_co_u32 v2, vcc_lo, v2, v9
	v_add_co_ci_u32_e32 v2, vcc_lo, v7, v10, vcc_lo
	v_add_co_ci_u32_e32 v7, vcc_lo, 0, v12, vcc_lo
	s_delay_alu instid0(VALU_DEP_2) | instskip(NEXT) | instid1(VALU_DEP_2)
	v_add_co_u32 v2, vcc_lo, v2, v11
	v_add_co_ci_u32_e32 v9, vcc_lo, 0, v7, vcc_lo
	s_delay_alu instid0(VALU_DEP_2) | instskip(SKIP_1) | instid1(VALU_DEP_3)
	v_mul_lo_u32 v10, s19, v2
	v_mad_u64_u32 v[7:8], null, s18, v2, 0
	v_mul_lo_u32 v11, s18, v9
	s_delay_alu instid0(VALU_DEP_2) | instskip(NEXT) | instid1(VALU_DEP_2)
	v_sub_co_u32 v7, vcc_lo, v5, v7
	v_add3_u32 v8, v8, v11, v10
	s_delay_alu instid0(VALU_DEP_1) | instskip(NEXT) | instid1(VALU_DEP_1)
	v_sub_nc_u32_e32 v10, v6, v8
	v_subrev_co_ci_u32_e64 v10, s2, s19, v10, vcc_lo
	v_add_co_u32 v11, s2, v2, 2
	s_delay_alu instid0(VALU_DEP_1) | instskip(SKIP_3) | instid1(VALU_DEP_3)
	v_add_co_ci_u32_e64 v12, s2, 0, v9, s2
	v_sub_co_u32 v13, s2, v7, s18
	v_sub_co_ci_u32_e32 v8, vcc_lo, v6, v8, vcc_lo
	v_subrev_co_ci_u32_e64 v10, s2, 0, v10, s2
	v_cmp_le_u32_e32 vcc_lo, s18, v13
	s_delay_alu instid0(VALU_DEP_3) | instskip(SKIP_1) | instid1(VALU_DEP_4)
	v_cmp_eq_u32_e64 s2, s19, v8
	v_cndmask_b32_e64 v13, 0, -1, vcc_lo
	v_cmp_le_u32_e32 vcc_lo, s19, v10
	v_cndmask_b32_e64 v14, 0, -1, vcc_lo
	v_cmp_le_u32_e32 vcc_lo, s18, v7
	;; [unrolled: 2-line block ×3, first 2 shown]
	v_cndmask_b32_e64 v15, 0, -1, vcc_lo
	v_cmp_eq_u32_e32 vcc_lo, s19, v10
	s_delay_alu instid0(VALU_DEP_2) | instskip(SKIP_3) | instid1(VALU_DEP_3)
	v_cndmask_b32_e64 v7, v15, v7, s2
	v_cndmask_b32_e32 v10, v14, v13, vcc_lo
	v_add_co_u32 v13, vcc_lo, v2, 1
	v_add_co_ci_u32_e32 v14, vcc_lo, 0, v9, vcc_lo
	v_cmp_ne_u32_e32 vcc_lo, 0, v10
	s_delay_alu instid0(VALU_DEP_2) | instskip(NEXT) | instid1(VALU_DEP_4)
	v_cndmask_b32_e32 v8, v14, v12, vcc_lo
	v_cndmask_b32_e32 v10, v13, v11, vcc_lo
	v_cmp_ne_u32_e32 vcc_lo, 0, v7
	s_delay_alu instid0(VALU_DEP_2)
	v_dual_cndmask_b32 v7, v2, v10 :: v_dual_cndmask_b32 v8, v9, v8
.LBB0_4:                                ;   in Loop: Header=BB0_2 Depth=1
	s_and_not1_saveexec_b32 s2, s3
	s_cbranch_execz .LBB0_6
; %bb.5:                                ;   in Loop: Header=BB0_2 Depth=1
	v_cvt_f32_u32_e32 v2, s18
	s_sub_i32 s3, 0, s18
	s_delay_alu instid0(VALU_DEP_1) | instskip(SKIP_2) | instid1(VALU_DEP_1)
	v_rcp_iflag_f32_e32 v2, v2
	s_waitcnt_depctr 0xfff
	v_mul_f32_e32 v2, 0x4f7ffffe, v2
	v_cvt_u32_f32_e32 v2, v2
	s_delay_alu instid0(VALU_DEP_1) | instskip(NEXT) | instid1(VALU_DEP_1)
	v_mul_lo_u32 v7, s3, v2
	v_mul_hi_u32 v7, v2, v7
	s_delay_alu instid0(VALU_DEP_1) | instskip(NEXT) | instid1(VALU_DEP_1)
	v_add_nc_u32_e32 v2, v2, v7
	v_mul_hi_u32 v2, v5, v2
	s_delay_alu instid0(VALU_DEP_1) | instskip(SKIP_1) | instid1(VALU_DEP_2)
	v_mul_lo_u32 v7, v2, s18
	v_add_nc_u32_e32 v8, 1, v2
	v_sub_nc_u32_e32 v7, v5, v7
	s_delay_alu instid0(VALU_DEP_1) | instskip(SKIP_1) | instid1(VALU_DEP_2)
	v_subrev_nc_u32_e32 v9, s18, v7
	v_cmp_le_u32_e32 vcc_lo, s18, v7
	v_dual_cndmask_b32 v7, v7, v9 :: v_dual_cndmask_b32 v2, v2, v8
	s_delay_alu instid0(VALU_DEP_1) | instskip(NEXT) | instid1(VALU_DEP_2)
	v_cmp_le_u32_e32 vcc_lo, s18, v7
	v_add_nc_u32_e32 v8, 1, v2
	s_delay_alu instid0(VALU_DEP_1)
	v_dual_cndmask_b32 v7, v2, v8 :: v_dual_mov_b32 v8, v1
.LBB0_6:                                ;   in Loop: Header=BB0_2 Depth=1
	s_or_b32 exec_lo, exec_lo, s2
	s_load_b64 s[2:3], s[12:13], 0x0
	s_delay_alu instid0(VALU_DEP_1) | instskip(NEXT) | instid1(VALU_DEP_2)
	v_mul_lo_u32 v2, v8, s18
	v_mul_lo_u32 v11, v7, s19
	v_mad_u64_u32 v[9:10], null, v7, s18, 0
	s_add_u32 s16, s16, 1
	s_addc_u32 s17, s17, 0
	s_add_u32 s12, s12, 8
	s_addc_u32 s13, s13, 0
	;; [unrolled: 2-line block ×3, first 2 shown]
	s_delay_alu instid0(VALU_DEP_1) | instskip(SKIP_1) | instid1(VALU_DEP_2)
	v_add3_u32 v2, v10, v11, v2
	v_sub_co_u32 v9, vcc_lo, v5, v9
	v_sub_co_ci_u32_e32 v2, vcc_lo, v6, v2, vcc_lo
	s_waitcnt lgkmcnt(0)
	s_delay_alu instid0(VALU_DEP_2) | instskip(NEXT) | instid1(VALU_DEP_2)
	v_mul_lo_u32 v10, s3, v9
	v_mul_lo_u32 v2, s2, v2
	v_mad_u64_u32 v[5:6], null, s2, v9, v[3:4]
	v_cmp_ge_u64_e64 s2, s[16:17], s[6:7]
	s_delay_alu instid0(VALU_DEP_1) | instskip(NEXT) | instid1(VALU_DEP_2)
	s_and_b32 vcc_lo, exec_lo, s2
	v_add3_u32 v4, v10, v6, v2
	s_delay_alu instid0(VALU_DEP_3)
	v_mov_b32_e32 v3, v5
	s_cbranch_vccnz .LBB0_9
; %bb.7:                                ;   in Loop: Header=BB0_2 Depth=1
	v_dual_mov_b32 v5, v7 :: v_dual_mov_b32 v6, v8
	s_branch .LBB0_2
.LBB0_8:
	v_dual_mov_b32 v8, v6 :: v_dual_mov_b32 v7, v5
.LBB0_9:
	s_lshl_b64 s[2:3], s[6:7], 3
	v_mul_hi_u32 v1, 0x4924925, v0
	s_add_u32 s2, s10, s2
	s_addc_u32 s3, s11, s3
                                        ; implicit-def: $vgpr202
	s_load_b64 s[2:3], s[2:3], 0x0
	s_load_b64 s[0:1], s[0:1], 0x20
	s_delay_alu instid0(VALU_DEP_1) | instskip(NEXT) | instid1(VALU_DEP_1)
	v_mul_u32_u24_e32 v5, 56, v1
	v_sub_nc_u32_e32 v208, v0, v5
	s_delay_alu instid0(VALU_DEP_1)
	v_or_b32_e32 v0, 0x1c0, v208
	s_waitcnt lgkmcnt(0)
	v_mul_lo_u32 v6, s2, v8
	v_mul_lo_u32 v9, s3, v7
	v_mad_u64_u32 v[1:2], null, s2, v7, v[3:4]
	v_cmp_gt_u64_e32 vcc_lo, s[0:1], v[7:8]
	v_cmp_le_u64_e64 s0, s[0:1], v[7:8]
	s_delay_alu instid0(VALU_DEP_3) | instskip(SKIP_2) | instid1(SALU_CYCLE_1)
	v_add3_u32 v2, v9, v2, v6
	scratch_store_b64 off, v[0:1], off offset:32 ; 8-byte Folded Spill
	s_and_saveexec_b32 s1, s0
	s_xor_b32 s0, exec_lo, s1
; %bb.10:
	v_or_b32_e32 v202, 0x1c0, v208
; %bb.11:
	s_or_saveexec_b32 s1, s0
	v_lshlrev_b64 v[0:1], 4, v[1:2]
                                        ; implicit-def: $vgpr92_vgpr93
                                        ; implicit-def: $vgpr108_vgpr109
                                        ; implicit-def: $vgpr80_vgpr81
                                        ; implicit-def: $vgpr104_vgpr105
                                        ; implicit-def: $vgpr64_vgpr65
                                        ; implicit-def: $vgpr40_vgpr41
                                        ; implicit-def: $vgpr68_vgpr69
                                        ; implicit-def: $vgpr36_vgpr37
                                        ; implicit-def: $vgpr72_vgpr73
                                        ; implicit-def: $vgpr56_vgpr57
                                        ; implicit-def: $vgpr76_vgpr77
                                        ; implicit-def: $vgpr52_vgpr53
                                        ; implicit-def: $vgpr88_vgpr89
                                        ; implicit-def: $vgpr100_vgpr101
                                        ; implicit-def: $vgpr84_vgpr85
                                        ; implicit-def: $vgpr96_vgpr97
                                        ; implicit-def: $vgpr16_vgpr17
                                        ; implicit-def: $vgpr60_vgpr61
                                        ; implicit-def: $vgpr128_vgpr129
                                        ; implicit-def: $vgpr20_vgpr21
                                        ; implicit-def: $vgpr132_vgpr133
                                        ; implicit-def: $vgpr48_vgpr49
                                        ; implicit-def: $vgpr136_vgpr137
                                        ; implicit-def: $vgpr44_vgpr45
                                        ; implicit-def: $vgpr124_vgpr125
                                        ; implicit-def: $vgpr32_vgpr33
                                        ; implicit-def: $vgpr120_vgpr121
                                        ; implicit-def: $vgpr28_vgpr29
                                        ; implicit-def: $vgpr116_vgpr117
                                        ; implicit-def: $vgpr24_vgpr25
                                        ; implicit-def: $vgpr112_vgpr113
                                        ; implicit-def: $vgpr12_vgpr13
                                        ; implicit-def: $vgpr140_vgpr141
                                        ; implicit-def: $vgpr8_vgpr9
                                        ; implicit-def: $vgpr144_vgpr145
                                        ; implicit-def: $vgpr4_vgpr5
	scratch_store_b64 off, v[0:1], off offset:40 ; 8-byte Folded Spill
	s_xor_b32 exec_lo, exec_lo, s1
	s_cbranch_execz .LBB0_15
; %bb.12:
	scratch_load_b64 v[2:3], off, off offset:40 ; 8-byte Folded Reload
	v_mov_b32_e32 v209, 0
	s_mov_b32 s2, exec_lo
                                        ; implicit-def: $vgpr126_vgpr127
	s_delay_alu instid0(VALU_DEP_1) | instskip(SKIP_2) | instid1(VALU_DEP_1)
	v_lshlrev_b64 v[0:1], 4, v[208:209]
	s_waitcnt vmcnt(0)
	v_add_co_u32 v20, s0, s8, v2
	v_add_co_ci_u32_e64 v21, s0, s9, v3, s0
	s_delay_alu instid0(VALU_DEP_2) | instskip(NEXT) | instid1(VALU_DEP_1)
	v_add_co_u32 v14, s0, v20, v0
	v_add_co_ci_u32_e64 v15, s0, v21, v1, s0
	s_clause 0x1
	global_load_b128 v[2:5], v[14:15], off
	global_load_b128 v[6:9], v[14:15], off offset:896
	v_add_co_u32 v18, s0, 0x1000, v14
	s_delay_alu instid0(VALU_DEP_1) | instskip(SKIP_1) | instid1(VALU_DEP_1)
	v_add_co_ci_u32_e64 v19, s0, 0, v15, s0
	v_add_co_u32 v16, s0, 0x3000, v14
	v_add_co_ci_u32_e64 v17, s0, 0, v15, s0
	v_add_co_u32 v0, s0, 0x5000, v14
	s_delay_alu instid0(VALU_DEP_1) | instskip(SKIP_1) | instid1(VALU_DEP_1)
	v_add_co_ci_u32_e64 v1, s0, 0, v15, s0
	v_add_co_u32 v58, s0, 0x4000, v14
	v_add_co_ci_u32_e64 v59, s0, 0, v15, s0
	;; [unrolled: 5-line block ×3, first 2 shown]
	v_add_co_u32 v128, s0, 0x7000, v14
	s_clause 0xb
	global_load_b128 v[10:13], v[14:15], off offset:1792
	global_load_b128 v[22:25], v[14:15], off offset:2688
	;; [unrolled: 1-line block ×12, first 2 shown]
	v_add_co_ci_u32_e64 v129, s0, 0, v15, s0
	s_clause 0x11
	global_load_b128 v[42:45], v[18:19], off offset:1280
	global_load_b128 v[46:49], v[18:19], off offset:2176
	;; [unrolled: 1-line block ×18, first 2 shown]
	scratch_load_b64 v[146:147], off, off offset:32 ; 8-byte Folded Reload
                                        ; implicit-def: $vgpr18_vgpr19
                                        ; implicit-def: $vgpr58_vgpr59
                                        ; implicit-def: $vgpr14_vgpr15
	s_waitcnt vmcnt(0)
	v_cmpx_gt_u32_e32 0x1ea, v146
; %bb.13:
	v_mov_b32_e32 v147, v209
	s_delay_alu instid0(VALU_DEP_1) | instskip(NEXT) | instid1(VALU_DEP_1)
	v_lshlrev_b64 v[14:15], 4, v[146:147]
	v_add_co_u32 v18, s0, v20, v14
	s_delay_alu instid0(VALU_DEP_1)
	v_add_co_ci_u32_e64 v19, s0, v21, v15, s0
	s_clause 0x3
	global_load_b128 v[14:17], v[16:17], off offset:2720
	global_load_b128 v[58:61], v[0:1], off offset:2368
	global_load_b128 v[18:21], v[18:19], off
	global_load_b128 v[126:129], v[128:129], off offset:2016
; %bb.14:
	s_or_b32 exec_lo, exec_lo, s2
	v_mov_b32_e32 v0, v146
	v_mov_b32_e32 v202, v146
	scratch_store_b64 off, v[0:1], off offset:32 ; 8-byte Folded Spill
.LBB0_15:
	s_or_b32 exec_lo, exec_lo, s1
	v_add_f64 v[0:1], v[2:3], -v[106:107]
	v_add_f64 v[106:107], v[90:91], -v[142:143]
	;; [unrolled: 1-line block ×24, first 2 shown]
	v_lshl_add_u32 v121, v208, 5, 0
	v_cmp_gt_u32_e64 s0, 42, v208
	v_fma_f64 v[2:3], v[2:3], 2.0, -v[0:1]
	v_fma_f64 v[50:51], v[90:91], 2.0, -v[106:107]
	;; [unrolled: 1-line block ×16, first 2 shown]
	v_add_f64 v[142:143], v[0:1], -v[138:139]
	v_add_f64 v[146:147], v[176:177], -v[134:135]
	;; [unrolled: 1-line block ×9, first 2 shown]
	s_waitcnt vmcnt(0)
	v_add_f64 v[50:51], v[16:17], -v[128:129]
	v_add_f64 v[148:149], v[90:91], -v[10:11]
	;; [unrolled: 1-line block ×4, first 2 shown]
	v_lshl_add_u32 v58, v202, 5, 0
	v_add_f64 v[152:153], v[22:23], -v[62:63]
	v_add_f64 v[156:157], v[26:27], -v[66:67]
	;; [unrolled: 1-line block ×5, first 2 shown]
	v_fma_f64 v[174:175], v[0:1], 2.0, -v[142:143]
	v_fma_f64 v[178:179], v[176:177], 2.0, -v[146:147]
	;; [unrolled: 1-line block ×10, first 2 shown]
	v_add_f64 v[2:3], v[10:11], -v[50:51]
	v_fma_f64 v[176:177], v[6:7], 2.0, -v[144:145]
	v_add_f64 v[6:7], v[14:15], -v[126:127]
	v_fma_f64 v[184:185], v[22:23], 2.0, -v[152:153]
	v_add_nc_u32_e32 v22, 0xa8, v208
	v_fma_f64 v[188:189], v[26:27], 2.0, -v[156:157]
	v_add_nc_u32_e32 v23, 0x118, v208
	;; [unrolled: 2-line block ×3, first 2 shown]
	v_fma_f64 v[196:197], v[42:43], 2.0, -v[164:165]
	v_lshl_add_u32 v75, v22, 5, 0
	v_fma_f64 v[204:205], v[46:47], 2.0, -v[168:169]
	v_lshl_add_u32 v63, v23, 5, 0
	v_lshl_add_u32 v59, v26, 5, 0
	scratch_store_b128 off, v[0:3], off offset:16 ; 16-byte Folded Spill
	v_add_nc_u32_e32 v3, 56, v208
	v_add_nc_u32_e32 v2, 0x70, v208
	;; [unrolled: 1-line block ×4, first 2 shown]
	s_delay_alu instid0(VALU_DEP_4) | instskip(NEXT) | instid1(VALU_DEP_4)
	v_lshl_add_u32 v124, v3, 5, 0
	v_lshl_add_u32 v120, v2, 5, 0
	s_delay_alu instid0(VALU_DEP_4) | instskip(NEXT) | instid1(VALU_DEP_4)
	v_lshl_add_u32 v74, v1, 5, 0
	v_lshl_add_u32 v62, v0, 5, 0
	ds_store_b128 v121, v[172:175]
	ds_store_b128 v121, v[140:143] offset:16
	ds_store_b128 v124, v[176:179]
	ds_store_b128 v124, v[144:147] offset:16
	;; [unrolled: 2-line block ×8, first 2 shown]
	s_and_saveexec_b32 s1, s0
	s_cbranch_execz .LBB0_17
; %bb.16:
	v_fma_f64 v[18:19], v[18:19], 2.0, -v[10:11]
	v_fma_f64 v[0:1], v[14:15], 2.0, -v[6:7]
	v_add_f64 v[142:143], v[10:11], -v[50:51]
	s_delay_alu instid0(VALU_DEP_2) | instskip(NEXT) | instid1(VALU_DEP_2)
	v_add_f64 v[140:141], v[18:19], -v[0:1]
	v_fma_f64 v[127:128], v[10:11], 2.0, -v[142:143]
	v_dual_mov_b32 v2, v142 :: v_dual_mov_b32 v3, v143
	scratch_store_b128 off, v[0:3], off offset:16 ; 16-byte Folded Spill
	v_fma_f64 v[125:126], v[18:19], 2.0, -v[140:141]
	ds_store_b128 v58, v[140:143] offset:16
	ds_store_b128 v58, v[125:128]
.LBB0_17:
	s_or_b32 exec_lo, exec_lo, s1
	v_add_f64 v[30:31], v[24:25], -v[36:37]
	v_add_f64 v[36:37], v[28:29], -v[56:57]
	;; [unrolled: 1-line block ×4, first 2 shown]
	v_fma_f64 v[18:19], v[72:73], 2.0, -v[118:119]
	v_add_f64 v[26:27], v[12:13], -v[40:41]
	v_add_f64 v[40:41], v[32:33], -v[52:53]
	;; [unrolled: 1-line block ×4, first 2 shown]
	v_fma_f64 v[10:11], v[92:93], 2.0, -v[138:139]
	v_fma_f64 v[14:15], v[80:81], 2.0, -v[134:135]
	;; [unrolled: 1-line block ×4, first 2 shown]
	v_lshl_add_u32 v209, v208, 3, 0
	scratch_store_b32 off, v202, off offset:64 ; 4-byte Folded Spill
	s_waitcnt lgkmcnt(0)
	s_waitcnt_vscnt null, 0x0
	s_barrier
	buffer_gl0_inv
	v_add_nc_u32_e32 v215, 0x1000, v209
	v_add_nc_u32_e32 v205, 0x1800, v209
	;; [unrolled: 1-line block ×8, first 2 shown]
	v_fma_f64 v[24:25], v[24:25], 2.0, -v[30:31]
	v_fma_f64 v[28:29], v[28:29], 2.0, -v[36:37]
	;; [unrolled: 1-line block ×11, first 2 shown]
	v_add_f64 v[106:107], v[106:107], v[0:1]
	v_add_f64 v[114:115], v[102:103], v[22:23]
	;; [unrolled: 1-line block ×8, first 2 shown]
	v_add_f64 v[52:53], v[28:29], -v[18:19]
	v_add_f64 v[18:19], v[20:21], -v[60:61]
	;; [unrolled: 1-line block ×7, first 2 shown]
	v_add_nc_u32_e32 v60, 0x400, v209
	v_add_f64 v[137:138], v[44:45], -v[68:69]
	v_add_f64 v[141:142], v[48:49], -v[70:71]
	v_fma_f64 v[147:148], v[0:1], 2.0, -v[106:107]
	v_fma_f64 v[151:152], v[22:23], 2.0, -v[114:115]
	ds_load_2addr_b64 v[8:11], v209 offset1:56
	ds_load_2addr_b64 v[12:15], v209 offset0:112 offset1:168
	v_fma_f64 v[155:156], v[26:27], 2.0, -v[127:128]
	v_fma_f64 v[159:160], v[30:31], 2.0, -v[131:132]
	;; [unrolled: 1-line block ×6, first 2 shown]
	v_add_nc_u32_e32 v70, 0x1c00, v209
	v_fma_f64 v[161:162], v[28:29], 2.0, -v[52:53]
	v_add_f64 v[2:3], v[6:7], v[18:19]
	v_fma_f64 v[145:146], v[4:5], 2.0, -v[104:105]
	v_fma_f64 v[149:150], v[56:57], 2.0, -v[112:113]
	;; [unrolled: 1-line block ×7, first 2 shown]
	scratch_store_b128 off, v[0:3], off     ; 16-byte Folded Spill
	ds_load_b64 v[0:1], v209 offset:15232
	ds_load_2addr_b64 v[22:25], v60 offset0:96 offset1:152
	ds_load_2addr_b64 v[92:95], v215 offset0:48 offset1:104
	;; [unrolled: 1-line block ×11, first 2 shown]
	ds_load_2addr_b64 v[76:79], v116 offset1:56
	ds_load_2addr_b64 v[96:99], v214 offset0:192 offset1:248
	ds_load_2addr_b64 v[30:33], v70 offset0:112 offset1:168
	;; [unrolled: 1-line block ×3, first 2 shown]
	s_waitcnt lgkmcnt(0)
	s_waitcnt_vscnt null, 0x0
	s_barrier
	buffer_gl0_inv
	ds_store_b128 v121, v[145:148]
	ds_store_b128 v121, v[104:107] offset:16
	ds_store_b128 v124, v[149:152]
	ds_store_b128 v124, v[112:115] offset:16
	;; [unrolled: 2-line block ×8, first 2 shown]
	s_and_saveexec_b32 s1, s0
	s_cbranch_execz .LBB0_19
; %bb.18:
	v_fma_f64 v[4:5], v[16:17], 2.0, -v[50:51]
	scratch_load_b128 v[50:53], off, off    ; 16-byte Folded Reload
	v_fma_f64 v[20:21], v[20:21], 2.0, -v[18:19]
	s_delay_alu instid0(VALU_DEP_1) | instskip(NEXT) | instid1(VALU_DEP_1)
	v_add_f64 v[4:5], v[20:21], -v[4:5]
	v_fma_f64 v[16:17], v[20:21], 2.0, -v[4:5]
	s_waitcnt vmcnt(0)
	v_dual_mov_b32 v6, v52 :: v_dual_mov_b32 v7, v53
	v_dual_mov_b32 v2, v52 :: v_dual_mov_b32 v3, v53
	s_delay_alu instid0(VALU_DEP_2)
	v_fma_f64 v[18:19], v[18:19], 2.0, -v[6:7]
	ds_store_b128 v58, v[4:7] offset:16
	scratch_store_b128 off, v[0:3], off     ; 16-byte Folded Spill
	ds_store_b128 v58, v[16:19]
.LBB0_19:
	s_or_b32 exec_lo, exec_lo, s1
	v_and_b32_e32 v4, 3, v208
	s_waitcnt lgkmcnt(0)
	s_waitcnt_vscnt null, 0x0
	s_barrier
	buffer_gl0_inv
	s_mov_b32 s14, 0x37e14327
	v_mul_u32_u24_e32 v2, 6, v4
	s_mov_b32 s16, 0xe976ee23
	s_mov_b32 s2, 0x36b3c0b5
	;; [unrolled: 1-line block ×4, first 2 shown]
	v_lshlrev_b32_e32 v2, 4, v2
	s_mov_b32 s17, 0xbfe11646
	s_mov_b32 s3, 0x3fac98ee
	;; [unrolled: 1-line block ×4, first 2 shown]
	s_clause 0x5
	global_load_b128 v[120:123], v2, s[4:5]
	global_load_b128 v[134:137], v2, s[4:5] offset:16
	global_load_b128 v[50:53], v2, s[4:5] offset:64
	;; [unrolled: 1-line block ×5, first 2 shown]
	ds_load_2addr_b64 v[124:127], v214 offset0:80 offset1:136
	ds_load_2addr_b64 v[128:131], v214 offset0:192 offset1:248
	;; [unrolled: 1-line block ×14, first 2 shown]
	ds_load_2addr_b64 v[186:189], v116 offset1:56
	ds_load_b64 v[20:21], v209 offset:15232
	s_mov_b32 s12, 0xb247c609
	s_mov_b32 s18, 0x5476071b
	;; [unrolled: 1-line block ×11, first 2 shown]
	v_lshrrev_b32_e32 v5, 2, v208
	v_cmp_gt_u32_e64 s0, 28, v208
	s_delay_alu instid0(VALU_DEP_2) | instskip(NEXT) | instid1(VALU_DEP_1)
	v_mul_u32_u24_e32 v5, 28, v5
	v_or_b32_e32 v5, v5, v4
	s_waitcnt vmcnt(5) lgkmcnt(15)
	v_mul_f64 v[118:119], v[126:127], v[122:123]
	v_mul_f64 v[132:133], v[100:101], v[122:123]
	v_mul_f64 v[138:139], v[102:103], v[122:123]
	s_waitcnt lgkmcnt(14)
	v_mul_f64 v[150:151], v[130:131], v[122:123]
	v_mul_f64 v[162:163], v[98:99], v[122:123]
	;; [unrolled: 1-line block ×5, first 2 shown]
	s_waitcnt lgkmcnt(13)
	v_mul_f64 v[164:165], v[74:75], v[122:123]
	v_mul_f64 v[122:123], v[24:25], v[122:123]
	s_waitcnt vmcnt(4) lgkmcnt(12)
	v_mul_f64 v[170:171], v[146:147], v[136:137]
	v_mul_f64 v[172:173], v[148:149], v[136:137]
	;; [unrolled: 1-line block ×3, first 2 shown]
	s_waitcnt vmcnt(3) lgkmcnt(11)
	v_mul_f64 v[194:195], v[60:61], v[52:53]
	s_waitcnt vmcnt(2) lgkmcnt(10)
	v_mul_f64 v[196:197], v[104:105], v[18:19]
	s_waitcnt lgkmcnt(9)
	v_mul_f64 v[198:199], v[154:155], v[136:137]
	v_mul_f64 v[200:201], v[156:157], v[136:137]
	;; [unrolled: 1-line block ×4, first 2 shown]
	s_waitcnt lgkmcnt(8)
	v_mul_f64 v[228:229], v[158:159], v[136:137]
	v_mul_f64 v[246:247], v[106:107], v[18:19]
	s_waitcnt lgkmcnt(3)
	v_mul_f64 v[252:253], v[182:183], v[52:53]
	v_mul_f64 v[222:223], v[184:185], v[52:53]
	s_waitcnt lgkmcnt(1)
	v_mul_f64 v[224:225], v[186:187], v[18:19]
	s_waitcnt lgkmcnt(0)
	v_mul_f64 v[202:203], v[20:21], v[18:19]
	v_mul_f64 v[192:193], v[94:95], v[136:137]
	s_waitcnt vmcnt(1)
	v_mul_f64 v[220:221], v[160:161], v[64:65]
	v_mul_f64 v[230:231], v[68:69], v[64:65]
	;; [unrolled: 1-line block ×3, first 2 shown]
	s_waitcnt vmcnt(0)
	v_mul_f64 v[232:233], v[166:167], v[56:57]
	v_mul_f64 v[234:235], v[42:43], v[56:57]
	;; [unrolled: 1-line block ×9, first 2 shown]
	v_fma_f64 v[6:7], v[102:103], v[120:121], -v[118:119]
	v_fma_f64 v[118:119], v[124:125], v[120:121], v[132:133]
	v_fma_f64 v[102:103], v[126:127], v[120:121], v[138:139]
	v_mul_f64 v[132:133], v[112:113], v[52:53]
	v_mul_f64 v[126:127], v[188:189], v[18:19]
	v_fma_f64 v[242:243], v[98:99], v[120:121], -v[150:151]
	v_fma_f64 v[98:99], v[130:131], v[120:121], v[162:163]
	v_mul_f64 v[162:163], v[114:115], v[52:53]
	v_mul_f64 v[254:255], v[178:179], v[56:57]
	;; [unrolled: 1-line block ×3, first 2 shown]
	v_fma_f64 v[116:117], v[100:101], v[120:121], -v[116:117]
	v_mul_f64 v[210:211], v[88:89], v[18:19]
	v_mul_f64 v[226:227], v[108:109], v[64:65]
	v_fma_f64 v[244:245], v[96:97], v[120:121], -v[142:143]
	v_mul_f64 v[2:3], v[110:111], v[64:65]
	v_fma_f64 v[138:139], v[128:129], v[120:121], v[152:153]
	v_mul_f64 v[96:97], v[30:31], v[64:65]
	v_fma_f64 v[248:249], v[24:25], v[120:121], -v[164:165]
	v_fma_f64 v[150:151], v[74:75], v[120:121], v[122:123]
	v_mul_f64 v[24:25], v[32:33], v[64:65]
	v_mul_f64 v[64:65], v[34:35], v[56:57]
	v_fma_f64 v[120:121], v[92:93], v[134:135], -v[170:171]
	v_fma_f64 v[92:93], v[94:95], v[134:135], -v[172:173]
	v_mul_f64 v[74:75], v[36:37], v[56:57]
	v_mul_f64 v[100:101], v[58:59], v[56:57]
	v_fma_f64 v[152:153], v[146:147], v[134:135], v[190:191]
	v_mul_f64 v[190:191], v[80:81], v[52:53]
	v_fma_f64 v[94:95], v[88:89], v[16:17], -v[196:197]
	v_fma_f64 v[122:123], v[28:29], v[50:51], -v[194:195]
	v_mul_f64 v[28:29], v[90:91], v[18:19]
	v_fma_f64 v[88:89], v[90:91], v[16:17], -v[246:247]
	v_mul_f64 v[246:247], v[82:83], v[52:53]
	v_mul_f64 v[56:57], v[26:27], v[56:57]
	v_fma_f64 v[124:125], v[80:81], v[50:51], -v[252:253]
	v_fma_f64 v[90:91], v[84:85], v[134:135], -v[198:199]
	;; [unrolled: 1-line block ×3, first 2 shown]
	v_mul_f64 v[80:81], v[76:77], v[18:19]
	v_mul_f64 v[198:199], v[46:47], v[52:53]
	v_fma_f64 v[82:83], v[82:83], v[50:51], -v[222:223]
	v_fma_f64 v[86:87], v[76:77], v[16:17], -v[224:225]
	v_mul_f64 v[52:53], v[48:49], v[52:53]
	v_mul_f64 v[76:77], v[78:79], v[18:19]
	v_fma_f64 v[146:147], v[154:155], v[134:135], v[216:217]
	v_fma_f64 v[142:143], v[156:157], v[134:135], v[218:219]
	v_mul_f64 v[18:19], v[0:1], v[18:19]
	v_fma_f64 v[126:127], v[78:79], v[16:17], -v[126:127]
	v_fma_f64 v[130:131], v[46:47], v[50:51], -v[132:133]
	;; [unrolled: 1-line block ×5, first 2 shown]
	v_fma_f64 v[148:149], v[148:149], v[134:135], v[192:193]
	v_fma_f64 v[132:133], v[68:69], v[62:63], -v[220:221]
	v_fma_f64 v[136:137], v[158:159], v[134:135], v[136:137]
	v_fma_f64 v[134:135], v[160:161], v[62:63], v[230:231]
	v_fma_f64 v[164:165], v[42:43], v[54:55], -v[232:233]
	v_fma_f64 v[158:159], v[44:45], v[54:55], -v[238:239]
	v_fma_f64 v[172:173], v[166:167], v[54:55], v[234:235]
	v_fma_f64 v[196:197], v[60:61], v[50:51], v[236:237]
	;; [unrolled: 1-line block ×3, first 2 shown]
	v_fma_f64 v[166:167], v[38:39], v[62:63], -v[140:141]
	v_fma_f64 v[160:161], v[40:41], v[62:63], -v[144:145]
	v_fma_f64 v[174:175], v[174:175], v[62:63], v[70:71]
	v_fma_f64 v[168:169], v[176:177], v[62:63], v[250:251]
	v_fma_f64 v[162:163], v[34:35], v[54:55], -v[254:255]
	v_fma_f64 v[200:201], v[104:105], v[16:17], v[210:211]
	v_fma_f64 v[192:193], v[182:183], v[50:51], v[190:191]
	v_add_f64 v[0:1], v[248:249], v[94:95]
	v_add_f64 v[34:35], v[120:121], v[122:123]
	v_fma_f64 v[176:177], v[178:179], v[54:55], v[64:65]
	v_fma_f64 v[194:195], v[106:107], v[16:17], v[28:29]
	;; [unrolled: 1-line block ×3, first 2 shown]
	v_add_f64 v[28:29], v[116:117], v[88:89]
	v_add_f64 v[38:39], v[92:93], v[124:125]
	v_fma_f64 v[104:105], v[36:37], v[54:55], -v[212:213]
	v_fma_f64 v[106:107], v[108:109], v[62:63], v[96:97]
	v_fma_f64 v[186:187], v[186:187], v[16:17], v[80:81]
	;; [unrolled: 1-line block ×4, first 2 shown]
	v_add_f64 v[36:37], v[6:7], v[86:87]
	v_add_f64 v[40:41], v[90:91], v[82:83]
	v_fma_f64 v[180:181], v[30:31], v[62:63], -v[226:227]
	v_fma_f64 v[112:113], v[32:33], v[62:63], -v[2:3]
	v_fma_f64 v[110:111], v[110:111], v[62:63], v[24:25]
	v_fma_f64 v[178:179], v[26:27], v[54:55], -v[100:101]
	v_add_f64 v[2:3], v[244:245], v[126:127]
	v_add_f64 v[24:25], v[84:85], v[130:131]
	v_fma_f64 v[198:199], v[188:189], v[16:17], v[76:77]
	v_fma_f64 v[188:189], v[114:115], v[50:51], v[52:53]
	;; [unrolled: 1-line block ×4, first 2 shown]
	v_add_f64 v[16:17], v[242:243], v[154:155]
	v_add_f64 v[18:19], v[128:129], v[156:157]
	;; [unrolled: 1-line block ×3, first 2 shown]
	v_add_nc_u32_e32 v254, 0x70, v208
	v_add_f64 v[30:31], v[172:173], -v[134:135]
	v_add_f64 v[20:21], v[152:153], -v[196:197]
	v_add_nc_u32_e32 v253, 0xe0, v208
	v_add_f64 v[42:43], v[166:167], v[158:159]
	v_add_f64 v[48:49], v[170:171], -v[174:175]
	v_add_f64 v[60:61], v[160:161], v[162:163]
	v_add_f64 v[32:33], v[150:151], -v[200:201]
	v_add_f64 v[44:45], v[148:149], -v[192:193]
	v_add_f64 v[46:47], v[34:35], v[0:1]
	v_add_f64 v[54:55], v[176:177], -v[168:169]
	v_add_f64 v[50:51], v[118:119], -v[194:195]
	;; [unrolled: 1-line block ×3, first 2 shown]
	v_add_f64 v[56:57], v[38:39], v[28:29]
	v_add_f64 v[58:59], v[102:103], -v[186:187]
	v_add_f64 v[64:65], v[108:109], -v[106:107]
	;; [unrolled: 1-line block ×3, first 2 shown]
	v_add_f64 v[66:67], v[40:41], v[36:37]
	v_add_f64 v[68:69], v[180:181], v[104:105]
	;; [unrolled: 1-line block ×4, first 2 shown]
	v_add_f64 v[76:77], v[138:139], -v[198:199]
	v_add_f64 v[78:79], v[136:137], -v[188:189]
	;; [unrolled: 1-line block ×4, first 2 shown]
	v_add_f64 v[202:203], v[18:19], v[16:17]
	v_add_f64 v[210:211], v[0:1], -v[26:27]
	v_add_f64 v[216:217], v[26:27], -v[34:35]
	;; [unrolled: 1-line block ×4, first 2 shown]
	v_add_f64 v[218:219], v[30:31], v[20:21]
	v_add_f64 v[220:221], v[28:29], -v[42:43]
	v_add_f64 v[222:223], v[42:43], -v[38:39]
	;; [unrolled: 1-line block ×5, first 2 shown]
	v_add_f64 v[224:225], v[48:49], v[44:45]
	v_add_f64 v[230:231], v[60:61], -v[40:41]
	v_add_f64 v[26:27], v[26:27], v[46:47]
	v_add_f64 v[46:47], v[48:49], -v[44:45]
	v_add_f64 v[44:45], v[44:45], -v[50:51]
	v_add_f64 v[226:227], v[54:55], v[52:53]
	v_add_f64 v[34:35], v[50:51], -v[48:49]
	v_add_f64 v[42:43], v[42:43], v[56:57]
	v_add_f64 v[56:57], v[54:55], -v[52:53]
	v_add_f64 v[30:31], v[32:33], -v[30:31]
	;; [unrolled: 1-line block ×4, first 2 shown]
	v_add_f64 v[232:233], v[64:65], v[62:63]
	v_add_f64 v[236:237], v[64:65], -v[62:63]
	v_add_f64 v[60:61], v[60:61], v[66:67]
	v_add_f64 v[66:67], v[2:3], -v[68:69]
	v_add_f64 v[234:235], v[68:69], -v[24:25]
	;; [unrolled: 1-line block ×4, first 2 shown]
	v_add_f64 v[48:49], v[68:69], v[74:75]
	v_add_f64 v[62:63], v[62:63], -v[76:77]
	v_add_f64 v[74:75], v[96:97], -v[18:19]
	;; [unrolled: 1-line block ×3, first 2 shown]
	v_add_f64 v[68:69], v[80:81], v[78:79]
	v_add_f64 v[78:79], v[78:79], -v[100:101]
	v_add_f64 v[202:203], v[96:97], v[202:203]
	v_add_f64 v[96:97], v[16:17], -v[96:97]
	v_add_f64 v[24:25], v[76:77], -v[64:65]
	v_mul_f64 v[54:55], v[210:211], s[14:15]
	v_mul_f64 v[64:65], v[212:213], s[16:17]
	v_add_f64 v[16:17], v[18:19], -v[16:17]
	v_add_f64 v[18:19], v[218:219], v[32:33]
	v_mul_f64 v[210:211], v[216:217], s[2:3]
	v_mul_f64 v[212:213], v[220:221], s[14:15]
	;; [unrolled: 1-line block ×3, first 2 shown]
	v_add_f64 v[80:81], v[100:101], -v[80:81]
	v_mul_f64 v[32:33], v[20:21], s[10:11]
	v_add_f64 v[50:51], v[224:225], v[50:51]
	v_add_f64 v[8:9], v[8:9], v[26:27]
	v_mul_f64 v[46:47], v[46:47], s[16:17]
	v_mul_f64 v[220:221], v[44:45], s[10:11]
	v_add_f64 v[58:59], v[226:227], v[58:59]
	v_mul_f64 v[226:227], v[228:229], s[14:15]
	v_add_f64 v[10:11], v[10:11], v[42:43]
	v_mul_f64 v[56:57], v[56:57], s[16:17]
	v_mul_f64 v[228:229], v[230:231], s[2:3]
	;; [unrolled: 1-line block ×3, first 2 shown]
	v_add_f64 v[76:77], v[232:233], v[76:77]
	v_mul_f64 v[236:237], v[236:237], s[16:17]
	v_add_f64 v[12:13], v[12:13], v[60:61]
	v_mul_f64 v[66:67], v[66:67], s[14:15]
	v_mul_f64 v[232:233], v[234:235], s[2:3]
	v_add_f64 v[14:15], v[14:15], v[48:49]
	v_mul_f64 v[238:239], v[62:63], s[10:11]
	;; [unrolled: 3-line block ×3, first 2 shown]
	v_add_f64 v[22:23], v[22:23], v[202:203]
	v_mul_f64 v[240:241], v[78:79], s[10:11]
	v_mul_f64 v[96:97], v[96:97], s[14:15]
	v_fma_f64 v[216:217], v[216:217], s[2:3], v[54:55]
	v_fma_f64 v[20:21], v[20:21], s[10:11], -v[64:65]
	v_fma_f64 v[64:65], v[30:31], s[12:13], v[64:65]
	v_fma_f64 v[54:55], v[0:1], s[20:21], -v[54:55]
	v_fma_f64 v[0:1], v[0:1], s[18:19], -v[210:211]
	;; [unrolled: 1-line block ×5, first 2 shown]
	v_fma_f64 v[32:33], v[222:223], s[2:3], v[212:213]
	v_fma_f64 v[26:27], v[26:27], s[6:7], v[8:9]
	;; [unrolled: 1-line block ×3, first 2 shown]
	v_fma_f64 v[44:45], v[44:45], s[10:11], -v[46:47]
	v_fma_f64 v[34:35], v[34:35], s[22:23], -v[220:221]
	v_fma_f64 v[42:43], v[42:43], s[6:7], v[10:11]
	v_fma_f64 v[46:47], v[52:53], s[10:11], -v[56:57]
	v_fma_f64 v[52:53], v[40:41], s[12:13], v[56:57]
	v_fma_f64 v[40:41], v[40:41], s[22:23], -v[224:225]
	v_fma_f64 v[56:57], v[230:231], s[2:3], v[226:227]
	v_fma_f64 v[212:213], v[36:37], s[18:19], -v[228:229]
	v_fma_f64 v[36:37], v[36:37], s[20:21], -v[226:227]
	v_fma_f64 v[60:61], v[60:61], s[6:7], v[12:13]
	v_fma_f64 v[220:221], v[234:235], s[2:3], v[66:67]
	v_fma_f64 v[222:223], v[2:3], s[18:19], -v[232:233]
	v_fma_f64 v[224:225], v[24:25], s[12:13], v[236:237]
	v_fma_f64 v[62:63], v[62:63], s[10:11], -v[236:237]
	v_fma_f64 v[2:3], v[2:3], s[20:21], -v[66:67]
	v_fma_f64 v[48:49], v[48:49], s[6:7], v[14:15]
	v_fma_f64 v[24:25], v[24:25], s[22:23], -v[238:239]
	v_lshl_add_u32 v232, v5, 3, 0
	v_fma_f64 v[66:67], v[80:81], s[12:13], v[38:39]
	v_fma_f64 v[38:39], v[78:79], s[10:11], -v[38:39]
	v_fma_f64 v[78:79], v[16:17], s[18:19], -v[100:101]
	v_fma_f64 v[100:101], v[202:203], s[6:7], v[22:23]
	v_fma_f64 v[80:81], v[80:81], s[22:23], -v[240:241]
	v_fma_f64 v[74:75], v[74:75], s[2:3], v[96:97]
	;; [unrolled: 2-line block ×3, first 2 shown]
	v_fma_f64 v[64:65], v[18:19], s[24:25], v[64:65]
	v_fma_f64 v[18:19], v[18:19], s[24:25], v[30:31]
	v_add_f64 v[30:31], v[216:217], v[26:27]
	v_add_f64 v[54:55], v[54:55], v[26:27]
	;; [unrolled: 1-line block ×3, first 2 shown]
	v_fma_f64 v[26:27], v[50:51], s[24:25], v[210:211]
	v_fma_f64 v[44:45], v[50:51], s[24:25], v[44:45]
	v_fma_f64 v[34:35], v[50:51], s[24:25], v[34:35]
	v_add_f64 v[32:33], v[32:33], v[42:43]
	v_add_f64 v[50:51], v[218:219], v[42:43]
	v_fma_f64 v[52:53], v[58:59], s[24:25], v[52:53]
	v_add_f64 v[28:29], v[28:29], v[42:43]
	v_fma_f64 v[42:43], v[58:59], s[24:25], v[46:47]
	v_fma_f64 v[40:41], v[58:59], s[24:25], v[40:41]
	v_add_f64 v[46:47], v[56:57], v[60:61]
	v_add_f64 v[36:37], v[36:37], v[60:61]
	;; [unrolled: 1-line block ×3, first 2 shown]
	v_fma_f64 v[58:59], v[76:77], s[24:25], v[224:225]
	v_fma_f64 v[60:61], v[76:77], s[24:25], v[62:63]
	v_add_nc_u32_e32 v225, 0xa8, v208
	v_add_f64 v[62:63], v[222:223], v[48:49]
	v_fma_f64 v[24:25], v[76:77], s[24:25], v[24:25]
	v_add_f64 v[2:3], v[2:3], v[48:49]
	v_fma_f64 v[66:67], v[68:69], s[24:25], v[66:67]
	v_fma_f64 v[38:39], v[68:69], s[24:25], v[38:39]
	v_add_f64 v[48:49], v[220:221], v[48:49]
	v_add_f64 v[96:97], v[78:79], v[100:101]
	v_fma_f64 v[68:69], v[68:69], s[24:25], v[80:81]
	v_add_f64 v[202:203], v[74:75], v[100:101]
	ds_load_2addr_b64 v[78:81], v209 offset1:56
	ds_load_2addr_b64 v[74:77], v209 offset0:112 offset1:168
	scratch_load_b32 v227, off, off offset:64 ; 4-byte Folded Reload
	v_add_f64 v[16:17], v[16:17], v[100:101]
	v_add_nc_u32_e32 v100, 56, v208
	v_lshrrev_b32_e32 v222, 2, v254
	v_lshrrev_b32_e32 v223, 2, v225
	;; [unrolled: 1-line block ×3, first 2 shown]
	s_waitcnt vmcnt(0) lgkmcnt(0)
	v_lshrrev_b32_e32 v218, 2, v100
	s_barrier
	buffer_gl0_inv
	v_add_f64 v[100:101], v[64:65], v[30:31]
	v_add_f64 v[210:211], v[18:19], v[54:55]
	v_add_f64 v[212:213], v[0:1], -v[20:21]
	v_add_f64 v[20:21], v[20:21], v[0:1]
	v_add_f64 v[18:19], v[54:55], -v[18:19]
	v_add_f64 v[30:31], v[30:31], -v[64:65]
	v_add_f64 v[54:55], v[26:27], v[32:33]
	v_add_f64 v[64:65], v[50:51], -v[44:45]
	v_add_f64 v[44:45], v[44:45], v[50:51]
	v_add_f64 v[50:51], v[34:35], v[28:29]
	v_add_f64 v[28:29], v[28:29], -v[34:35]
	v_add_f64 v[26:27], v[32:33], -v[26:27]
	v_add_f64 v[32:33], v[52:53], v[46:47]
	v_add_f64 v[34:35], v[40:41], v[36:37]
	v_add_f64 v[216:217], v[56:57], -v[42:43]
	v_add_f64 v[42:43], v[42:43], v[56:57]
	v_add_f64 v[36:37], v[36:37], -v[40:41]
	v_add_f64 v[40:41], v[46:47], -v[52:53]
	;; [unrolled: 1-line block ×3, first 2 shown]
	v_add_f64 v[52:53], v[60:61], v[62:63]
	v_add_f64 v[56:57], v[24:25], v[2:3]
	v_add_f64 v[2:3], v[2:3], -v[24:25]
	v_add_nc_u32_e32 v219, 0xc00, v209
	v_add_f64 v[24:25], v[58:59], v[48:49]
	v_add_f64 v[48:49], v[48:49], -v[58:59]
	v_add_f64 v[58:59], v[96:97], -v[38:39]
	v_add_f64 v[60:61], v[66:67], v[202:203]
	v_add_f64 v[38:39], v[38:39], v[96:97]
	v_add_f64 v[0:1], v[202:203], -v[66:67]
	v_add_f64 v[62:63], v[68:69], v[16:17]
	v_add_f64 v[16:17], v[16:17], -v[68:69]
	v_mul_u32_u24_e32 v66, 28, v218
	v_mul_u32_u24_e32 v67, 28, v222
	;; [unrolled: 1-line block ×4, first 2 shown]
	v_add_nc_u32_e32 v220, 0x1400, v209
	v_or_b32_e32 v66, v66, v4
	v_or_b32_e32 v67, v67, v4
	;; [unrolled: 1-line block ×4, first 2 shown]
	v_add_nc_u32_e32 v221, 0x3400, v209
	v_lshl_add_u32 v231, v66, 3, 0
	v_lshl_add_u32 v230, v67, 3, 0
	;; [unrolled: 1-line block ×4, first 2 shown]
	ds_store_2addr_b64 v232, v[8:9], v[100:101] offset1:4
	ds_store_2addr_b64 v232, v[210:211], v[212:213] offset0:8 offset1:12
	ds_store_2addr_b64 v232, v[20:21], v[18:19] offset0:16 offset1:20
	ds_store_b64 v232, v[30:31] offset:192
	ds_store_2addr_b64 v231, v[10:11], v[54:55] offset1:4
	ds_store_2addr_b64 v231, v[50:51], v[64:65] offset0:8 offset1:12
	ds_store_2addr_b64 v231, v[44:45], v[28:29] offset0:16 offset1:20
	ds_store_b64 v231, v[26:27] offset:192
	;; [unrolled: 4-line block ×5, first 2 shown]
	v_add_nc_u32_e32 v2, 0x1c00, v209
	s_waitcnt lgkmcnt(0)
	s_barrier
	buffer_gl0_inv
	ds_load_2addr_b64 v[36:39], v2 offset0:84 offset1:140
	ds_load_2addr_b64 v[32:35], v207 offset0:68 offset1:124
	v_add_nc_u32_e32 v2, 0x400, v209
	ds_load_2addr_b64 v[60:63], v2 offset0:96 offset1:152
	ds_load_2addr_b64 v[28:31], v207 offset0:180 offset1:236
	;; [unrolled: 1-line block ×6, first 2 shown]
	v_lshl_add_u32 v226, v227, 3, 0
	scratch_store_b32 off, v226, off offset:48 ; 4-byte Folded Spill
	ds_load_b64 v[215:216], v226
	ds_load_b64 v[4:5], v209 offset:15008
	ds_load_2addr_b64 v[20:23], v204 offset0:4 offset1:60
	ds_load_2addr_b64 v[8:11], v204 offset0:116 offset1:172
	;; [unrolled: 1-line block ×3, first 2 shown]
	ds_load_2addr_b64 v[68:71], v209 offset1:56
	ds_load_2addr_b64 v[64:67], v209 offset0:112 offset1:168
	ds_load_2addr_b64 v[52:55], v219 offset0:120 offset1:176
	;; [unrolled: 1-line block ×4, first 2 shown]
	s_and_saveexec_b32 s1, s0
	s_cbranch_execz .LBB0_21
; %bb.20:
	ds_load_b64 v[0:1], v209 offset:7616
	ds_load_b64 v[2:3], v209 offset:15456
	s_waitcnt lgkmcnt(0)
	scratch_store_b128 off, v[0:3], off offset:16 ; 16-byte Folded Spill
.LBB0_21:
	s_or_b32 exec_lo, exec_lo, s1
	v_add_f64 v[2:3], v[150:151], v[200:201]
	v_add_f64 v[96:97], v[152:153], v[196:197]
	;; [unrolled: 1-line block ×11, first 2 shown]
	v_add_f64 v[120:121], v[120:121], -v[122:123]
	v_add_f64 v[122:123], v[164:165], -v[132:133]
	v_add_f64 v[94:95], v[248:249], -v[94:95]
	v_add_f64 v[98:99], v[174:175], v[170:171]
	v_add_f64 v[92:93], v[92:93], -v[124:125]
	v_add_f64 v[124:125], v[158:159], -v[166:167]
	v_add_f64 v[88:89], v[116:117], -v[88:89]
	v_add_f64 v[116:117], v[168:169], v[176:177]
	;; [unrolled: 4-line block ×3, first 2 shown]
	v_add_f64 v[84:85], v[84:85], -v[130:131]
	v_add_f64 v[104:105], v[104:105], -v[180:181]
	;; [unrolled: 1-line block ×4, first 2 shown]
	v_add_f64 v[110:111], v[110:111], v[114:115]
	v_add_f64 v[112:113], v[178:179], -v[112:113]
	v_add_f64 v[114:115], v[242:243], -v[154:155]
	s_waitcnt lgkmcnt(0)
	s_waitcnt_vscnt null, 0x0
	s_barrier
	buffer_gl0_inv
	v_add_f64 v[132:133], v[96:97], v[2:3]
	v_add_f64 v[148:149], v[144:145], v[100:101]
	v_add_f64 v[150:151], v[146:147], v[140:141]
	v_add_f64 v[108:109], v[142:143], v[138:139]
	v_add_f64 v[128:129], v[136:137], v[118:119]
	v_add_f64 v[130:131], v[2:3], -v[134:135]
	v_add_f64 v[152:153], v[134:135], -v[96:97]
	;; [unrolled: 1-line block ×13, first 2 shown]
	v_add_f64 v[82:83], v[90:91], v[82:83]
	v_add_f64 v[172:173], v[104:105], -v[84:85]
	v_add_f64 v[96:97], v[84:85], -v[102:103]
	v_add_f64 v[84:85], v[104:105], v[84:85]
	v_add_f64 v[140:141], v[146:147], -v[140:141]
	v_add_f64 v[174:175], v[112:113], -v[126:127]
	v_add_f64 v[176:177], v[126:127], -v[114:115]
	v_add_f64 v[126:127], v[112:113], v[126:127]
	v_add_f64 v[90:91], v[86:87], -v[90:91]
	;; [unrolled: 4-line block ×3, first 2 shown]
	v_add_f64 v[98:99], v[98:99], v[148:149]
	v_add_f64 v[148:149], v[116:117], -v[146:147]
	v_add_f64 v[116:117], v[116:117], v[150:151]
	v_add_f64 v[150:151], v[138:139], -v[106:107]
	v_add_f64 v[106:107], v[106:107], v[108:109]
	v_add_f64 v[108:109], v[122:123], v[120:121]
	v_add_f64 v[120:121], v[118:119], -v[110:111]
	v_add_f64 v[128:129], v[110:111], v[128:129]
	v_add_f64 v[92:93], v[124:125], v[92:93]
	v_add_f64 v[110:111], v[110:111], -v[136:137]
	v_add_f64 v[122:123], v[94:95], -v[122:123]
	v_mul_f64 v[130:131], v[130:131], s[14:15]
	v_mul_f64 v[144:145], v[154:155], s[16:17]
	;; [unrolled: 1-line block ×4, first 2 shown]
	v_add_f64 v[124:125], v[88:89], -v[124:125]
	v_mul_f64 v[158:159], v[158:159], s[14:15]
	v_mul_f64 v[146:147], v[162:163], s[10:11]
	v_mul_f64 v[180:181], v[160:161], s[2:3]
	v_mul_f64 v[164:165], v[164:165], s[14:15]
	v_add_f64 v[138:139], v[142:143], -v[138:139]
	v_mul_f64 v[142:143], v[166:167], s[16:17]
	v_mul_f64 v[166:167], v[168:169], s[10:11]
	;; [unrolled: 1-line block ×3, first 2 shown]
	v_add_f64 v[118:119], v[136:137], -v[118:119]
	v_mul_f64 v[136:137], v[96:97], s[10:11]
	v_mul_f64 v[184:185], v[170:171], s[2:3]
	;; [unrolled: 1-line block ×3, first 2 shown]
	v_add_f64 v[82:83], v[82:83], v[86:87]
	v_add_f64 v[84:85], v[84:85], v[102:103]
	;; [unrolled: 1-line block ×4, first 2 shown]
	v_mul_f64 v[134:135], v[134:135], s[16:17]
	v_add_f64 v[80:81], v[80:81], v[98:99]
	v_mul_f64 v[182:183], v[148:149], s[2:3]
	v_add_f64 v[74:75], v[74:75], v[116:117]
	;; [unrolled: 2-line block ×3, first 2 shown]
	v_add_f64 v[94:95], v[108:109], v[94:95]
	v_mul_f64 v[120:121], v[120:121], s[14:15]
	v_mul_f64 v[108:109], v[176:177], s[10:11]
	v_add_f64 v[72:73], v[72:73], v[128:129]
	v_add_f64 v[88:89], v[92:93], v[88:89]
	v_mul_f64 v[92:93], v[110:111], s[2:3]
	v_fma_f64 v[102:103], v[152:153], s[2:3], v[130:131]
	v_fma_f64 v[126:127], v[122:123], s[12:13], v[144:145]
	v_fma_f64 v[114:115], v[2:3], s[18:19], -v[178:179]
	v_fma_f64 v[2:3], v[2:3], s[20:21], -v[130:131]
	;; [unrolled: 1-line block ×4, first 2 shown]
	v_fma_f64 v[144:145], v[160:161], s[2:3], v[158:159]
	v_fma_f64 v[152:153], v[100:101], s[18:19], -v[180:181]
	v_fma_f64 v[100:101], v[100:101], s[20:21], -v[158:159]
	v_fma_f64 v[156:157], v[90:91], s[12:13], v[142:143]
	v_fma_f64 v[142:143], v[168:169], s[10:11], -v[142:143]
	v_fma_f64 v[90:91], v[90:91], s[22:23], -v[166:167]
	;; [unrolled: 1-line block ×4, first 2 shown]
	v_fma_f64 v[132:133], v[132:133], s[6:7], v[78:79]
	v_fma_f64 v[154:155], v[124:125], s[12:13], v[134:135]
	v_fma_f64 v[134:135], v[162:163], s[10:11], -v[134:135]
	v_fma_f64 v[124:125], v[124:125], s[22:23], -v[146:147]
	v_fma_f64 v[98:99], v[98:99], s[6:7], v[80:81]
	v_fma_f64 v[146:147], v[148:149], s[2:3], v[164:165]
	;; [unrolled: 1-line block ×3, first 2 shown]
	v_fma_f64 v[148:149], v[140:141], s[18:19], -v[182:183]
	v_fma_f64 v[140:141], v[140:141], s[20:21], -v[164:165]
	v_fma_f64 v[158:159], v[170:171], s[2:3], v[150:151]
	v_fma_f64 v[162:163], v[104:105], s[12:13], v[172:173]
	v_fma_f64 v[104:105], v[104:105], s[22:23], -v[136:137]
	v_fma_f64 v[106:107], v[106:107], s[6:7], v[76:77]
	v_fma_f64 v[136:137], v[138:139], s[20:21], -v[150:151]
	v_fma_f64 v[110:111], v[110:111], s[2:3], v[120:121]
	v_fma_f64 v[138:139], v[112:113], s[12:13], v[174:175]
	v_fma_f64 v[150:151], v[176:177], s[10:11], -v[174:175]
	v_fma_f64 v[108:109], v[112:113], s[22:23], -v[108:109]
	v_fma_f64 v[112:113], v[128:129], s[6:7], v[72:73]
	v_fma_f64 v[120:121], v[118:119], s[20:21], -v[120:121]
	v_fma_f64 v[92:93], v[118:119], s[18:19], -v[92:93]
	v_fma_f64 v[118:119], v[94:95], s[24:25], v[126:127]
	v_fma_f64 v[126:127], v[94:95], s[24:25], v[130:131]
	;; [unrolled: 1-line block ×5, first 2 shown]
	v_add_f64 v[102:103], v[102:103], v[132:133]
	v_add_f64 v[2:3], v[2:3], v[132:133]
	;; [unrolled: 1-line block ×3, first 2 shown]
	v_fma_f64 v[122:123], v[88:89], s[24:25], v[154:155]
	v_fma_f64 v[128:129], v[88:89], s[24:25], v[134:135]
	;; [unrolled: 1-line block ×3, first 2 shown]
	v_add_f64 v[124:125], v[144:145], v[98:99]
	v_add_f64 v[100:101], v[100:101], v[98:99]
	v_add_f64 v[98:99], v[152:153], v[98:99]
	v_fma_f64 v[132:133], v[82:83], s[24:25], v[142:143]
	v_fma_f64 v[82:83], v[82:83], s[24:25], v[90:91]
	v_add_f64 v[90:91], v[146:147], v[116:117]
	v_add_f64 v[134:135], v[140:141], v[116:117]
	v_add_f64 v[116:117], v[148:149], v[116:117]
	v_fma_f64 v[140:141], v[84:85], s[24:25], v[162:163]
	v_fma_f64 v[84:85], v[84:85], s[24:25], v[104:105]
	;; [unrolled: 5-line block ×3, first 2 shown]
	v_fma_f64 v[86:87], v[86:87], s[24:25], v[108:109]
	v_add_f64 v[108:109], v[110:111], v[112:113]
	v_add_f64 v[110:111], v[120:121], v[112:113]
	;; [unrolled: 1-line block ×3, first 2 shown]
	v_add_f64 v[112:113], v[102:103], -v[118:119]
	v_add_f64 v[120:121], v[2:3], -v[94:95]
	v_add_f64 v[144:145], v[126:127], v[114:115]
	v_add_f64 v[114:115], v[114:115], -v[126:127]
	v_add_f64 v[2:3], v[94:95], v[2:3]
	v_add_f64 v[94:95], v[118:119], v[102:103]
	v_add_f64 v[102:103], v[124:125], -v[122:123]
	v_add_f64 v[118:119], v[100:101], -v[88:89]
	v_add_f64 v[126:127], v[128:129], v[98:99]
	v_add_f64 v[98:99], v[98:99], -v[128:129]
	v_add_f64 v[88:89], v[88:89], v[100:101]
	v_add_f64 v[100:101], v[122:123], v[124:125]
	;; [unrolled: 6-line block ×5, first 2 shown]
	v_add_nc_u32_e32 v108, 0x1c00, v209
	v_add_nc_u32_e32 v109, 0x2000, v209
	;; [unrolled: 1-line block ×8, first 2 shown]
	ds_store_2addr_b64 v232, v[78:79], v[112:113] offset1:4
	ds_store_2addr_b64 v232, v[120:121], v[144:145] offset0:8 offset1:12
	ds_store_2addr_b64 v232, v[114:115], v[2:3] offset0:16 offset1:20
	ds_store_b64 v232, v[94:95] offset:192
	ds_store_2addr_b64 v231, v[80:81], v[102:103] offset1:4
	ds_store_2addr_b64 v231, v[118:119], v[126:127] offset0:8 offset1:12
	ds_store_2addr_b64 v231, v[98:99], v[88:89] offset0:16 offset1:20
	ds_store_b64 v231, v[100:101] offset:192
	;; [unrolled: 4-line block ×5, first 2 shown]
	s_waitcnt lgkmcnt(0)
	s_barrier
	buffer_gl0_inv
	ds_load_2addr_b64 v[72:75], v209 offset1:56
	ds_load_2addr_b64 v[120:123], v108 offset0:84 offset1:140
	ds_load_2addr_b64 v[76:79], v209 offset0:112 offset1:168
	;; [unrolled: 1-line block ×15, first 2 shown]
	v_lshl_add_u32 v2, v227, 3, 0
	ds_load_b64 v[219:220], v2
	ds_load_b64 v[221:222], v209 offset:15008
	s_and_saveexec_b32 s1, s0
	s_cbranch_execz .LBB0_23
; %bb.22:
	ds_load_b64 v[217:218], v209 offset:7616
	ds_load_b64 v[2:3], v209 offset:15456
	s_waitcnt lgkmcnt(0)
	scratch_store_b128 off, v[0:3], off     ; 16-byte Folded Spill
.LBB0_23:
	s_or_b32 exec_lo, exec_lo, s1
	v_subrev_nc_u32_e32 v2, 28, v208
	v_mov_b32_e32 v139, 0
	v_or_b32_e32 v160, 0x380, v208
	v_add_nc_u32_e32 v143, 56, v208
	v_lshrrev_b16 v140, 2, v225
	v_cndmask_b32_e64 v138, v2, v208, s0
	v_lshrrev_b16 v141, 2, v253
	v_add_nc_u32_e32 v158, 0x118, v208
	v_add_nc_u32_e32 v159, 0x150, v208
	v_and_b32_e32 v140, 63, v140
	v_lshlrev_b64 v[2:3], 4, v[138:139]
	v_and_b32_e32 v141, 0xffff, v141
	v_lshrrev_b16 v142, 2, v158
	s_delay_alu instid0(VALU_DEP_4) | instskip(NEXT) | instid1(VALU_DEP_3)
	v_mul_lo_u16 v140, v140, 37
	v_mul_u32_u24_e32 v141, 0x4925, v141
	v_add_co_u32 v136, s1, s4, v2
	s_delay_alu instid0(VALU_DEP_1)
	v_add_co_ci_u32_e64 v137, s1, s5, v3, s1
	v_add_nc_u32_e32 v3, 0x188, v208
	v_cmp_lt_u32_e64 s1, 27, v208
	v_lshrrev_b16 v213, 8, v140
	v_lshrrev_b16 v140, 2, v160
	v_and_b32_e32 v142, 0xffff, v142
	v_lshrrev_b16 v2, 2, v3
	v_lshrrev_b32_e32 v214, 17, v141
	s_delay_alu instid0(VALU_DEP_4) | instskip(NEXT) | instid1(VALU_DEP_4)
	v_and_b32_e32 v140, 0xffff, v140
	v_mul_u32_u24_e32 v142, 0x4925, v142
	s_delay_alu instid0(VALU_DEP_4) | instskip(NEXT) | instid1(VALU_DEP_3)
	v_and_b32_e32 v2, 0xffff, v2
	v_mul_u32_u24_e32 v140, 0x4925, v140
	s_delay_alu instid0(VALU_DEP_3) | instskip(NEXT) | instid1(VALU_DEP_3)
	v_lshrrev_b32_e32 v223, 17, v142
	v_mul_u32_u24_e32 v2, 0x4925, v2
	s_delay_alu instid0(VALU_DEP_3) | instskip(NEXT) | instid1(VALU_DEP_2)
	v_lshrrev_b32_e32 v226, 17, v140
	v_lshrrev_b32_e32 v230, 17, v2
	s_delay_alu instid0(VALU_DEP_1) | instskip(NEXT) | instid1(VALU_DEP_1)
	v_mul_lo_u16 v2, v230, 28
	v_sub_nc_u16 v139, v3, v2
	v_add_nc_u16 v2, v208, 0x1f8
	s_delay_alu instid0(VALU_DEP_2) | instskip(NEXT) | instid1(VALU_DEP_2)
	v_and_b32_e32 v241, 0xffff, v139
	v_lshrrev_b16 v3, 2, v2
	s_delay_alu instid0(VALU_DEP_2) | instskip(NEXT) | instid1(VALU_DEP_2)
	v_lshlrev_b32_e32 v168, 4, v241
	v_and_b32_e32 v3, 0xffff, v3
	s_delay_alu instid0(VALU_DEP_1) | instskip(NEXT) | instid1(VALU_DEP_1)
	v_mul_u32_u24_e32 v3, 0x4925, v3
	v_lshrrev_b32_e32 v231, 17, v3
	s_delay_alu instid0(VALU_DEP_1) | instskip(NEXT) | instid1(VALU_DEP_1)
	v_mul_lo_u16 v3, v231, 28
	v_sub_nc_u16 v148, v2, v3
	v_add_nc_u16 v2, v208, 0x230
	s_delay_alu instid0(VALU_DEP_2) | instskip(NEXT) | instid1(VALU_DEP_2)
	v_and_b32_e32 v243, 0xffff, v148
	v_lshrrev_b16 v3, 2, v2
	s_delay_alu instid0(VALU_DEP_2) | instskip(NEXT) | instid1(VALU_DEP_2)
	v_lshlrev_b32_e32 v176, 4, v243
	v_and_b32_e32 v3, 0xffff, v3
	s_delay_alu instid0(VALU_DEP_1) | instskip(NEXT) | instid1(VALU_DEP_1)
	v_mul_u32_u24_e32 v3, 0x4925, v3
	;; [unrolled: 13-line block ×7, first 2 shown]
	v_lshrrev_b32_e32 v236, 17, v3
	s_delay_alu instid0(VALU_DEP_1) | instskip(NEXT) | instid1(VALU_DEP_1)
	v_mul_lo_u16 v3, v236, 28
	v_sub_nc_u16 v154, v2, v3
	v_lshrrev_b16 v2, 2, v227
	v_cndmask_b32_e64 v3, 0, 0x1c0, s1
	s_delay_alu instid0(VALU_DEP_3) | instskip(NEXT) | instid1(VALU_DEP_3)
	v_and_b32_e32 v249, 0xffff, v154
	v_and_b32_e32 v2, 0xffff, v2
	s_delay_alu instid0(VALU_DEP_2) | instskip(NEXT) | instid1(VALU_DEP_2)
	v_lshlrev_b32_e32 v200, 4, v249
	v_mul_u32_u24_e32 v2, 0x4925, v2
	s_delay_alu instid0(VALU_DEP_1) | instskip(NEXT) | instid1(VALU_DEP_1)
	v_lshrrev_b32_e32 v210, 17, v2
	v_mul_lo_u16 v2, v210, 28
	s_delay_alu instid0(VALU_DEP_1) | instskip(SKIP_1) | instid1(VALU_DEP_2)
	v_sub_nc_u16 v155, v227, v2
	v_lshlrev_b32_e32 v2, 3, v138
	v_and_b32_e32 v242, 0xffff, v155
	s_delay_alu instid0(VALU_DEP_2) | instskip(SKIP_1) | instid1(VALU_DEP_3)
	v_add3_u32 v233, 0, v3, v2
	v_add_nc_u16 v2, v208, 0x3b8
	v_lshlrev_b32_e32 v172, 4, v242
	s_delay_alu instid0(VALU_DEP_2) | instskip(NEXT) | instid1(VALU_DEP_1)
	v_lshrrev_b16 v3, 2, v2
	v_and_b32_e32 v3, 0xffff, v3
	s_delay_alu instid0(VALU_DEP_1) | instskip(NEXT) | instid1(VALU_DEP_1)
	v_mul_u32_u24_e32 v3, 0x4925, v3
	v_lshrrev_b32_e32 v3, 17, v3
	s_delay_alu instid0(VALU_DEP_1) | instskip(NEXT) | instid1(VALU_DEP_1)
	v_mul_lo_u16 v3, v3, 28
	v_sub_nc_u16 v138, v2, v3
	v_lshrrev_b16 v2, 2, v143
	v_lshrrev_b16 v3, 2, v254
	s_delay_alu instid0(VALU_DEP_3) | instskip(NEXT) | instid1(VALU_DEP_3)
	v_and_b32_e32 v251, 0xffff, v138
	v_and_b32_e32 v2, 63, v2
	s_delay_alu instid0(VALU_DEP_3) | instskip(NEXT) | instid1(VALU_DEP_3)
	v_and_b32_e32 v3, 63, v3
	v_lshlrev_b32_e32 v252, 4, v251
	s_delay_alu instid0(VALU_DEP_3) | instskip(NEXT) | instid1(VALU_DEP_3)
	v_mul_lo_u16 v2, v2, 37
	v_mul_lo_u16 v3, v3, 37
	s_delay_alu instid0(VALU_DEP_2) | instskip(NEXT) | instid1(VALU_DEP_2)
	v_lshrrev_b16 v211, 8, v2
	v_lshrrev_b16 v212, 8, v3
	;; [unrolled: 1-line block ×3, first 2 shown]
	s_delay_alu instid0(VALU_DEP_3) | instskip(NEXT) | instid1(VALU_DEP_3)
	v_mul_lo_u16 v2, v211, 28
	v_mul_lo_u16 v141, v212, 28
	s_delay_alu instid0(VALU_DEP_3) | instskip(NEXT) | instid1(VALU_DEP_3)
	v_and_b32_e32 v3, 0xffff, v3
	v_sub_nc_u16 v2, v143, v2
	s_delay_alu instid0(VALU_DEP_3) | instskip(NEXT) | instid1(VALU_DEP_3)
	v_sub_nc_u16 v156, v254, v141
	v_mul_u32_u24_e32 v3, 0x4925, v3
	s_delay_alu instid0(VALU_DEP_3) | instskip(SKIP_1) | instid1(VALU_DEP_4)
	v_and_b32_e32 v224, 0xff, v2
	v_mul_lo_u16 v2, v213, 28
	v_and_b32_e32 v227, 0xff, v156
	s_delay_alu instid0(VALU_DEP_2) | instskip(NEXT) | instid1(VALU_DEP_4)
	v_sub_nc_u16 v157, v225, v2
	v_lshlrev_b32_e32 v2, 4, v224
	s_clause 0x1
	global_load_b128 v[140:143], v[136:137], off offset:384
	global_load_b128 v[144:147], v2, s[4:5] offset:384
	v_mul_lo_u16 v136, v214, 28
	v_lshrrev_b32_e32 v225, 17, v3
	v_mul_lo_u16 v137, v223, 28
	v_and_b32_e32 v228, 0xff, v157
	s_delay_alu instid0(VALU_DEP_4) | instskip(NEXT) | instid1(VALU_DEP_3)
	v_sub_nc_u16 v136, v253, v136
	v_sub_nc_u16 v137, v158, v137
	v_mul_lo_u16 v158, v225, 28
	s_delay_alu instid0(VALU_DEP_3) | instskip(SKIP_1) | instid1(VALU_DEP_4)
	v_and_b32_e32 v238, 0xffff, v136
	v_mul_lo_u16 v136, v226, 28
	v_and_b32_e32 v239, 0xffff, v137
	v_mov_b32_e32 v137, v160
	v_sub_nc_u16 v158, v159, v158
	s_delay_alu instid0(VALU_DEP_4) | instskip(NEXT) | instid1(VALU_DEP_4)
	v_sub_nc_u16 v136, v160, v136
	v_lshlrev_b32_e32 v139, 4, v239
	scratch_store_b64 off, v[137:138], off offset:80 ; 8-byte Folded Spill
	v_and_b32_e32 v240, 0xffff, v158
	v_lshlrev_b32_e32 v137, 4, v228
	v_and_b32_e32 v250, 0xffff, v136
	v_lshlrev_b32_e32 v136, 4, v227
	v_lshlrev_b32_e32 v138, 4, v238
	;; [unrolled: 1-line block ×3, first 2 shown]
	s_delay_alu instid0(VALU_DEP_4)
	v_lshlrev_b32_e32 v204, 4, v250
	s_clause 0xf
	global_load_b128 v[148:151], v136, s[4:5] offset:384
	global_load_b128 v[152:155], v137, s[4:5] offset:384
	;; [unrolled: 1-line block ×16, first 2 shown]
	s_waitcnt vmcnt(0) lgkmcnt(0)
	s_waitcnt_vscnt null, 0x0
	s_barrier
	buffer_gl0_inv
	v_mul_f64 v[2:3], v[120:121], v[142:143]
	s_delay_alu instid0(VALU_DEP_1) | instskip(NEXT) | instid1(VALU_DEP_1)
	v_fma_f64 v[2:3], v[36:37], v[140:141], -v[2:3]
	v_add_f64 v[2:3], v[68:69], -v[2:3]
	s_delay_alu instid0(VALU_DEP_1) | instskip(SKIP_3) | instid1(VALU_DEP_1)
	v_fma_f64 v[68:69], v[68:69], 2.0, -v[2:3]
	ds_store_2addr_b64 v233, v[68:69], v[2:3] offset1:28
	v_mul_f64 v[2:3], v[122:123], v[146:147]
	v_and_b32_e32 v68, 0xffff, v211
	v_mul_u32_u24_e32 v68, 0x1c0, v68
	s_delay_alu instid0(VALU_DEP_3) | instskip(NEXT) | instid1(VALU_DEP_1)
	v_fma_f64 v[2:3], v[38:39], v[144:145], -v[2:3]
	v_add_f64 v[2:3], v[70:71], -v[2:3]
	s_delay_alu instid0(VALU_DEP_1) | instskip(SKIP_1) | instid1(VALU_DEP_1)
	v_fma_f64 v[69:70], v[70:71], 2.0, -v[2:3]
	v_lshlrev_b32_e32 v71, 3, v224
	v_add3_u32 v68, 0, v68, v71
	ds_store_2addr_b64 v68, v[69:70], v[2:3] offset1:28
	v_and_b32_e32 v2, 0xffff, v212
	v_lshlrev_b32_e32 v3, 3, v227
	s_delay_alu instid0(VALU_DEP_2) | instskip(NEXT) | instid1(VALU_DEP_1)
	v_mul_u32_u24_e32 v2, 0x1c0, v2
	v_add3_u32 v69, 0, v2, v3
	v_mul_f64 v[2:3], v[124:125], v[150:151]
	s_delay_alu instid0(VALU_DEP_1) | instskip(NEXT) | instid1(VALU_DEP_1)
	v_fma_f64 v[2:3], v[32:33], v[148:149], -v[2:3]
	v_add_f64 v[2:3], v[64:65], -v[2:3]
	s_delay_alu instid0(VALU_DEP_1) | instskip(SKIP_3) | instid1(VALU_DEP_1)
	v_fma_f64 v[64:65], v[64:65], 2.0, -v[2:3]
	ds_store_2addr_b64 v69, v[64:65], v[2:3] offset1:28
	v_mul_f64 v[2:3], v[126:127], v[154:155]
	v_and_b32_e32 v64, 0xffff, v213
	v_mul_u32_u24_e32 v64, 0x1c0, v64
	s_delay_alu instid0(VALU_DEP_3) | instskip(NEXT) | instid1(VALU_DEP_1)
	v_fma_f64 v[2:3], v[34:35], v[152:153], -v[2:3]
	v_add_f64 v[2:3], v[66:67], -v[2:3]
	s_delay_alu instid0(VALU_DEP_1) | instskip(SKIP_1) | instid1(VALU_DEP_1)
	v_fma_f64 v[65:66], v[66:67], 2.0, -v[2:3]
	v_lshlrev_b32_e32 v67, 3, v228
	v_add3_u32 v64, 0, v64, v67
	ds_store_2addr_b64 v64, v[65:66], v[2:3] offset1:28
	v_mul_u32_u24_e32 v2, 0x1c0, v214
	v_lshlrev_b32_e32 v3, 3, v238
	s_delay_alu instid0(VALU_DEP_1) | instskip(SKIP_1) | instid1(VALU_DEP_1)
	v_add3_u32 v65, 0, v2, v3
	v_mul_f64 v[2:3], v[128:129], v[158:159]
	v_fma_f64 v[2:3], v[28:29], v[156:157], -v[2:3]
	s_delay_alu instid0(VALU_DEP_1) | instskip(NEXT) | instid1(VALU_DEP_1)
	v_add_f64 v[2:3], v[60:61], -v[2:3]
	v_fma_f64 v[60:61], v[60:61], 2.0, -v[2:3]
	ds_store_2addr_b64 v65, v[60:61], v[2:3] offset1:28
	v_mul_f64 v[2:3], v[130:131], v[162:163]
	v_mul_u32_u24_e32 v60, 0x1c0, v223
	s_delay_alu instid0(VALU_DEP_2) | instskip(NEXT) | instid1(VALU_DEP_1)
	v_fma_f64 v[2:3], v[30:31], v[160:161], -v[2:3]
	v_add_f64 v[2:3], v[62:63], -v[2:3]
	s_delay_alu instid0(VALU_DEP_1) | instskip(SKIP_1) | instid1(VALU_DEP_1)
	v_fma_f64 v[61:62], v[62:63], 2.0, -v[2:3]
	v_lshlrev_b32_e32 v63, 3, v239
	v_add3_u32 v60, 0, v60, v63
	ds_store_2addr_b64 v60, v[61:62], v[2:3] offset1:28
	v_mul_u32_u24_e32 v2, 0x1c0, v225
	v_lshlrev_b32_e32 v3, 3, v240
	s_delay_alu instid0(VALU_DEP_1) | instskip(SKIP_1) | instid1(VALU_DEP_1)
	v_add3_u32 v61, 0, v2, v3
	v_mul_f64 v[2:3], v[132:133], v[166:167]
	v_fma_f64 v[2:3], v[24:25], v[164:165], -v[2:3]
	s_delay_alu instid0(VALU_DEP_1) | instskip(NEXT) | instid1(VALU_DEP_1)
	v_add_f64 v[2:3], v[56:57], -v[2:3]
	v_fma_f64 v[56:57], v[56:57], 2.0, -v[2:3]
	ds_store_2addr_b64 v61, v[56:57], v[2:3] offset1:28
	v_mul_f64 v[2:3], v[134:135], v[170:171]
	v_mul_u32_u24_e32 v56, 0x1c0, v230
	s_delay_alu instid0(VALU_DEP_2) | instskip(NEXT) | instid1(VALU_DEP_1)
	v_fma_f64 v[2:3], v[26:27], v[168:169], -v[2:3]
	v_add_f64 v[2:3], v[58:59], -v[2:3]
	s_delay_alu instid0(VALU_DEP_1) | instskip(SKIP_1) | instid1(VALU_DEP_1)
	v_fma_f64 v[57:58], v[58:59], 2.0, -v[2:3]
	v_lshlrev_b32_e32 v59, 3, v241
	v_add3_u32 v56, 0, v56, v59
	ds_store_2addr_b64 v56, v[57:58], v[2:3] offset1:28
	v_mul_u32_u24_e32 v2, 0x1c0, v210
	v_lshlrev_b32_e32 v3, 3, v242
	s_delay_alu instid0(VALU_DEP_1) | instskip(SKIP_1) | instid1(VALU_DEP_1)
	v_add3_u32 v57, 0, v2, v3
	v_mul_f64 v[2:3], v[104:105], v[174:175]
	v_fma_f64 v[2:3], v[16:17], v[172:173], -v[2:3]
	s_delay_alu instid0(VALU_DEP_1) | instskip(NEXT) | instid1(VALU_DEP_1)
	v_add_f64 v[2:3], v[215:216], -v[2:3]
	v_fma_f64 v[58:59], v[215:216], 2.0, -v[2:3]
	ds_store_2addr_b64 v57, v[58:59], v[2:3] offset1:28
	v_mul_u32_u24_e32 v2, 0x1c0, v231
	v_lshlrev_b32_e32 v3, 3, v243
	s_delay_alu instid0(VALU_DEP_1) | instskip(SKIP_1) | instid1(VALU_DEP_1)
	v_add3_u32 v58, 0, v2, v3
	v_mul_f64 v[2:3], v[106:107], v[178:179]
	v_fma_f64 v[2:3], v[18:19], v[176:177], -v[2:3]
	s_delay_alu instid0(VALU_DEP_1) | instskip(NEXT) | instid1(VALU_DEP_1)
	v_add_f64 v[2:3], v[52:53], -v[2:3]
	v_fma_f64 v[52:53], v[52:53], 2.0, -v[2:3]
	ds_store_2addr_b64 v58, v[52:53], v[2:3] offset1:28
	v_mul_f64 v[2:3], v[108:109], v[182:183]
	v_mul_u32_u24_e32 v52, 0x1c0, v229
	s_delay_alu instid0(VALU_DEP_2) | instskip(NEXT) | instid1(VALU_DEP_1)
	v_fma_f64 v[2:3], v[20:21], v[180:181], -v[2:3]
	v_add_f64 v[2:3], v[54:55], -v[2:3]
	s_delay_alu instid0(VALU_DEP_1) | instskip(SKIP_1) | instid1(VALU_DEP_1)
	v_fma_f64 v[53:54], v[54:55], 2.0, -v[2:3]
	v_lshlrev_b32_e32 v55, 3, v244
	v_add3_u32 v52, 0, v52, v55
	ds_store_2addr_b64 v52, v[53:54], v[2:3] offset1:28
	v_mul_u32_u24_e32 v2, 0x1c0, v232
	v_lshlrev_b32_e32 v3, 3, v245
	v_lshl_add_u32 v54, v251, 3, 0
	s_delay_alu instid0(VALU_DEP_2) | instskip(SKIP_1) | instid1(VALU_DEP_1)
	v_add3_u32 v53, 0, v2, v3
	v_mul_f64 v[2:3], v[110:111], v[186:187]
	v_fma_f64 v[2:3], v[22:23], v[184:185], -v[2:3]
	s_delay_alu instid0(VALU_DEP_1) | instskip(NEXT) | instid1(VALU_DEP_1)
	v_add_f64 v[2:3], v[48:49], -v[2:3]
	v_fma_f64 v[48:49], v[48:49], 2.0, -v[2:3]
	ds_store_2addr_b64 v53, v[48:49], v[2:3] offset1:28
	v_mul_f64 v[2:3], v[112:113], v[190:191]
	v_mul_u32_u24_e32 v48, 0x1c0, v234
	s_delay_alu instid0(VALU_DEP_2) | instskip(NEXT) | instid1(VALU_DEP_1)
	v_fma_f64 v[2:3], v[8:9], v[188:189], -v[2:3]
	v_add_f64 v[2:3], v[50:51], -v[2:3]
	s_delay_alu instid0(VALU_DEP_1) | instskip(SKIP_1) | instid1(VALU_DEP_1)
	v_fma_f64 v[49:50], v[50:51], 2.0, -v[2:3]
	v_lshlrev_b32_e32 v51, 3, v246
	v_add3_u32 v48, 0, v48, v51
	ds_store_2addr_b64 v48, v[49:50], v[2:3] offset1:28
	v_mul_u32_u24_e32 v2, 0x1c0, v237
	v_lshlrev_b32_e32 v3, 3, v247
	s_delay_alu instid0(VALU_DEP_1) | instskip(SKIP_1) | instid1(VALU_DEP_1)
	v_add3_u32 v49, 0, v2, v3
	v_mul_f64 v[2:3], v[114:115], v[194:195]
	v_fma_f64 v[2:3], v[10:11], v[192:193], -v[2:3]
	s_delay_alu instid0(VALU_DEP_1) | instskip(NEXT) | instid1(VALU_DEP_1)
	v_add_f64 v[2:3], v[44:45], -v[2:3]
	v_fma_f64 v[44:45], v[44:45], 2.0, -v[2:3]
	ds_store_2addr_b64 v49, v[44:45], v[2:3] offset1:28
	v_mul_f64 v[2:3], v[116:117], v[198:199]
	s_delay_alu instid0(VALU_DEP_1) | instskip(NEXT) | instid1(VALU_DEP_1)
	v_fma_f64 v[2:3], v[12:13], v[196:197], -v[2:3]
	v_add_f64 v[2:3], v[46:47], -v[2:3]
	s_delay_alu instid0(VALU_DEP_1) | instskip(SKIP_2) | instid1(VALU_DEP_1)
	v_fma_f64 v[44:45], v[46:47], 2.0, -v[2:3]
	v_mul_u32_u24_e32 v46, 0x1c0, v235
	v_lshlrev_b32_e32 v47, 3, v248
	v_add3_u32 v50, 0, v46, v47
	ds_store_2addr_b64 v50, v[44:45], v[2:3] offset1:28
	v_mul_u32_u24_e32 v2, 0x1c0, v236
	v_lshlrev_b32_e32 v3, 3, v249
	s_delay_alu instid0(VALU_DEP_1) | instskip(SKIP_1) | instid1(VALU_DEP_1)
	v_add3_u32 v51, 0, v2, v3
	v_mul_f64 v[2:3], v[118:119], v[202:203]
	v_fma_f64 v[2:3], v[14:15], v[200:201], -v[2:3]
	s_delay_alu instid0(VALU_DEP_1) | instskip(NEXT) | instid1(VALU_DEP_1)
	v_add_f64 v[2:3], v[40:41], -v[2:3]
	v_fma_f64 v[40:41], v[40:41], 2.0, -v[2:3]
	ds_store_2addr_b64 v51, v[40:41], v[2:3] offset1:28
	v_mul_f64 v[2:3], v[221:222], v[206:207]
	s_delay_alu instid0(VALU_DEP_1) | instskip(NEXT) | instid1(VALU_DEP_1)
	v_fma_f64 v[2:3], v[4:5], v[204:205], -v[2:3]
	v_add_f64 v[2:3], v[42:43], -v[2:3]
	s_delay_alu instid0(VALU_DEP_1) | instskip(SKIP_2) | instid1(VALU_DEP_1)
	v_fma_f64 v[40:41], v[42:43], 2.0, -v[2:3]
	v_mul_u32_u24_e32 v42, 0x1c0, v226
	v_lshlrev_b32_e32 v43, 3, v250
	v_add3_u32 v55, 0, v42, v43
	ds_store_2addr_b64 v55, v[40:41], v[2:3] offset1:28
	s_and_saveexec_b32 s1, s0
	s_cbranch_execz .LBB0_25
; %bb.24:
	scratch_load_b128 v[40:43], off, off    ; 16-byte Folded Reload
	s_waitcnt vmcnt(0)
	v_mul_f64 v[2:3], v[42:43], v[138:139]
	scratch_load_b128 v[40:43], off, off offset:16 ; 16-byte Folded Reload
	s_waitcnt vmcnt(0)
	v_add_nc_u32_e32 v40, 0x3800, v54
	v_fma_f64 v[2:3], v[42:43], v[136:137], -v[2:3]
	s_delay_alu instid0(VALU_DEP_1) | instskip(NEXT) | instid1(VALU_DEP_1)
	v_add_f64 v[2:3], v[0:1], -v[2:3]
	v_fma_f64 v[0:1], v[0:1], 2.0, -v[2:3]
	ds_store_2addr_b64 v40, v[0:1], v[2:3] offset0:112 offset1:140
.LBB0_25:
	s_or_b32 exec_lo, exec_lo, s1
	v_mul_f64 v[0:1], v[36:37], v[142:143]
	v_mul_f64 v[2:3], v[38:39], v[146:147]
	;; [unrolled: 1-line block ×17, first 2 shown]
	s_waitcnt lgkmcnt(0)
	s_barrier
	buffer_gl0_inv
	v_add_nc_u32_e32 v167, 0x2800, v209
	v_add_nc_u32_e32 v166, 0x800, v209
	;; [unrolled: 1-line block ×5, first 2 shown]
	v_fma_f64 v[0:1], v[120:121], v[140:141], v[0:1]
	v_fma_f64 v[2:3], v[122:123], v[144:145], v[2:3]
	;; [unrolled: 1-line block ×17, first 2 shown]
	v_add_nc_u32_e32 v165, 0x400, v209
	v_add_nc_u32_e32 v164, 0x1000, v209
	;; [unrolled: 1-line block ×4, first 2 shown]
	v_add_f64 v[0:1], v[72:73], -v[0:1]
	v_add_f64 v[2:3], v[74:75], -v[2:3]
	;; [unrolled: 1-line block ×17, first 2 shown]
	ds_load_2addr_b64 v[16:19], v209 offset0:112 offset1:168
	v_add_nc_u32_e32 v8, 0x2000, v209
	ds_load_2addr_b64 v[12:15], v209 offset1:56
	s_waitcnt lgkmcnt(1)
	scratch_store_b128 off, v[16:19], off offset:64 ; 16-byte Folded Spill
	v_fma_f64 v[72:73], v[72:73], 2.0, -v[0:1]
	v_fma_f64 v[74:75], v[74:75], 2.0, -v[2:3]
	;; [unrolled: 1-line block ×16, first 2 shown]
	ds_load_b64 v[116:117], v209 offset:15232
	ds_load_2addr_b64 v[16:19], v165 offset0:96 offset1:152
	ds_load_2addr_b64 v[84:87], v164 offset0:48 offset1:104
	;; [unrolled: 1-line block ×11, first 2 shown]
	ds_load_2addr_b64 v[40:43], v214 offset1:56
	ds_load_2addr_b64 v[36:39], v166 offset0:192 offset1:248
	ds_load_2addr_b64 v[32:35], v207 offset0:112 offset1:168
	;; [unrolled: 1-line block ×3, first 2 shown]
	v_fma_f64 v[144:145], v[219:220], 2.0, -v[110:111]
	s_waitcnt lgkmcnt(0)
	s_waitcnt_vscnt null, 0x0
	s_barrier
	buffer_gl0_inv
	ds_store_2addr_b64 v233, v[72:73], v[0:1] offset1:28
	ds_store_2addr_b64 v68, v[74:75], v[2:3] offset1:28
	;; [unrolled: 1-line block ×17, first 2 shown]
	s_and_saveexec_b32 s1, s0
	s_cbranch_execz .LBB0_27
; %bb.26:
	scratch_load_b128 v[0:3], off, off offset:16 ; 16-byte Folded Reload
	s_waitcnt vmcnt(0)
	v_mul_f64 v[0:1], v[2:3], v[138:139]
	scratch_load_b128 v[2:5], off, off      ; 16-byte Folded Reload
	s_waitcnt vmcnt(0)
	v_fma_f64 v[0:1], v[4:5], v[136:137], v[0:1]
	v_add_nc_u32_e32 v4, 0x3800, v54
	s_delay_alu instid0(VALU_DEP_2) | instskip(NEXT) | instid1(VALU_DEP_1)
	v_add_f64 v[0:1], v[217:218], -v[0:1]
	v_fma_f64 v[2:3], v[217:218], 2.0, -v[0:1]
	ds_store_2addr_b64 v4, v[2:3], v[0:1] offset0:112 offset1:140
.LBB0_27:
	s_or_b32 exec_lo, exec_lo, s1
	v_add_nc_u32_e32 v3, 0xa8, v208
	v_lshrrev_b16 v0, 3, v254
	v_mul_u32_u24_e32 v2, 6, v208
	s_waitcnt lgkmcnt(0)
	s_barrier
	v_lshrrev_b16 v1, 3, v3
	v_and_b32_e32 v0, 31, v0
	v_lshlrev_b32_e32 v2, 4, v2
	buffer_gl0_inv
	s_mov_b32 s16, 0x37e14327
	v_and_b32_e32 v1, 31, v1
	v_mul_lo_u16 v0, v0, 37
	s_clause 0x2
	global_load_b128 v[4:7], v2, s[4:5] offset:848
	global_load_b128 v[104:107], v2, s[4:5] offset:880
	;; [unrolled: 1-line block ×3, first 2 shown]
	v_mul_lo_u16 v1, v1, 37
	v_lshrrev_b16 v0, 8, v0
	s_mov_b32 s20, 0xe976ee23
	s_mov_b32 s6, 0x429ad128
	;; [unrolled: 1-line block ×3, first 2 shown]
	v_lshrrev_b16 v1, 8, v1
	v_mul_lo_u16 v0, v0, 56
	s_mov_b32 s21, 0xbfe11646
	s_mov_b32 s7, 0x3febfeb5
	;; [unrolled: 1-line block ×3, first 2 shown]
	v_mul_lo_u16 v1, v1, 56
	v_sub_nc_u16 v0, v254, v0
	s_mov_b32 s18, 0xb247c609
	s_mov_b32 s11, 0x3fe77f67
	;; [unrolled: 1-line block ×3, first 2 shown]
	v_sub_nc_u16 v1, v3, v1
	v_and_b32_e32 v175, 0xff, v0
	v_lshrrev_b16 v3, 3, v253
	s_mov_b32 s19, 0x3fd5d0dc
	s_mov_b32 s14, s10
	v_and_b32_e32 v174, 0xff, v1
	v_mul_u32_u24_e32 v0, 6, v175
	v_and_b32_e32 v3, 0xffff, v3
	s_mov_b32 s22, s18
	s_mov_b32 s0, 0xaaaaaaaa
	v_mul_u32_u24_e32 v1, 6, v174
	v_lshlrev_b32_e32 v0, 4, v0
	s_mov_b32 s1, 0xbff2aaaa
	s_mov_b32 s12, 0x37c3f68c
	;; [unrolled: 1-line block ×3, first 2 shown]
	v_lshlrev_b32_e32 v1, 4, v1
	s_clause 0xb
	global_load_b128 v[122:125], v0, s[4:5] offset:848
	global_load_b128 v[126:129], v1, s[4:5] offset:848
	;; [unrolled: 1-line block ×12, first 2 shown]
	v_mul_u32_u24_e32 v2, 0x2493, v3
	s_clause 0x1
	global_load_b128 v[219:222], v1, s[4:5] offset:864
	global_load_b128 v[52:55], v1, s[4:5] offset:896
	v_lshrrev_b32_e32 v2, 16, v2
	s_delay_alu instid0(VALU_DEP_1) | instskip(NEXT) | instid1(VALU_DEP_1)
	v_mul_lo_u16 v0, v2, 56
	v_sub_nc_u16 v0, v253, v0
	s_delay_alu instid0(VALU_DEP_1) | instskip(NEXT) | instid1(VALU_DEP_1)
	v_and_b32_e32 v176, 0xffff, v0
	v_mul_u32_u24_e32 v0, 6, v176
	s_delay_alu instid0(VALU_DEP_1)
	v_lshlrev_b32_e32 v0, 4, v0
	s_clause 0x6
	global_load_b128 v[48:51], v1, s[4:5] offset:912
	global_load_b128 v[68:71], v0, s[4:5] offset:832
	global_load_b128 v[64:67], v0, s[4:5] offset:848
	global_load_b128 v[60:63], v0, s[4:5] offset:864
	global_load_b128 v[56:59], v0, s[4:5] offset:880
	global_load_b128 v[76:79], v0, s[4:5] offset:896
	global_load_b128 v[72:75], v0, s[4:5] offset:912
	ds_load_2addr_b64 v[136:139], v164 offset0:48 offset1:104
	ds_load_2addr_b64 v[144:147], v8 offset0:96 offset1:152
	;; [unrolled: 1-line block ×8, first 2 shown]
	s_waitcnt vmcnt(23) lgkmcnt(7)
	v_mul_f64 v[118:119], v[136:137], v[6:7]
	v_mul_f64 v[120:121], v[138:139], v[6:7]
	;; [unrolled: 1-line block ×4, first 2 shown]
	s_waitcnt vmcnt(22) lgkmcnt(6)
	v_mul_f64 v[142:143], v[144:145], v[106:107]
	v_mul_f64 v[148:149], v[146:147], v[106:107]
	;; [unrolled: 1-line block ×3, first 2 shown]
	s_waitcnt vmcnt(21) lgkmcnt(5)
	v_mul_f64 v[152:153], v[229:230], v[110:111]
	v_mul_f64 v[156:157], v[231:232], v[110:111]
	;; [unrolled: 1-line block ×5, first 2 shown]
	s_waitcnt vmcnt(20) lgkmcnt(4)
	v_mul_f64 v[205:206], v[233:234], v[124:125]
	v_mul_f64 v[210:211], v[100:101], v[124:125]
	s_waitcnt vmcnt(19)
	v_mul_f64 v[212:213], v[235:236], v[128:129]
	s_waitcnt vmcnt(18) lgkmcnt(3)
	v_mul_f64 v[225:226], v[237:238], v[132:133]
	v_mul_f64 v[132:133], v[96:97], v[132:133]
	s_waitcnt vmcnt(17)
	v_mul_f64 v[249:250], v[239:240], v[160:161]
	v_mul_f64 v[160:161], v[98:99], v[160:161]
	s_waitcnt vmcnt(16) lgkmcnt(2)
	v_mul_f64 v[251:252], v[241:242], v[179:180]
	s_waitcnt vmcnt(15)
	v_mul_f64 v[253:254], v[243:244], v[183:184]
	v_mul_f64 v[183:184], v[114:115], v[183:184]
	s_waitcnt lgkmcnt(1)
	v_mul_f64 v[227:228], v[2:3], v[179:180]
	v_mul_f64 v[170:171], v[112:113], v[179:180]
	;; [unrolled: 1-line block ×3, first 2 shown]
	s_waitcnt vmcnt(14) lgkmcnt(0)
	v_mul_f64 v[172:173], v[245:246], v[187:188]
	s_waitcnt vmcnt(13)
	v_mul_f64 v[8:9], v[247:248], v[191:192]
	v_mul_f64 v[223:224], v[102:103], v[128:129]
	v_fma_f64 v[134:135], v[84:85], v[4:5], -v[118:119]
	v_fma_f64 v[118:119], v[86:87], v[4:5], -v[120:121]
	v_fma_f64 v[140:141], v[136:137], v[4:5], v[140:141]
	v_fma_f64 v[120:121], v[138:139], v[4:5], v[6:7]
	v_fma_f64 v[142:143], v[44:45], v[104:105], -v[142:143]
	v_fma_f64 v[124:125], v[46:47], v[104:105], -v[148:149]
	ds_load_2addr_b64 v[44:47], v209 offset1:56
	v_fma_f64 v[148:149], v[144:145], v[104:105], v[150:151]
	ds_load_2addr_b64 v[84:87], v168 offset0:16 offset1:72
	v_fma_f64 v[154:155], v[92:93], v[108:109], -v[152:153]
	v_fma_f64 v[150:151], v[94:95], v[108:109], -v[156:157]
	v_fma_f64 v[156:157], v[229:230], v[108:109], v[162:163]
	v_fma_f64 v[152:153], v[231:232], v[108:109], v[110:111]
	ds_load_2addr_b64 v[229:232], v167 offset0:176 offset1:232
	ds_load_2addr_b64 v[92:95], v167 offset0:64 offset1:120
	ds_load_2addr_b64 v[4:7], v209 offset0:112 offset1:168
	v_fma_f64 v[128:129], v[146:147], v[104:105], v[106:107]
	v_mul_f64 v[10:11], v[90:91], v[191:192]
	v_mul_f64 v[191:192], v[88:89], v[187:188]
	v_fma_f64 v[136:137], v[100:101], v[122:123], -v[205:206]
	v_fma_f64 v[138:139], v[233:234], v[122:123], v[210:211]
	v_fma_f64 v[122:123], v[102:103], v[126:127], -v[212:213]
	ds_load_2addr_b64 v[108:111], v214 offset1:56
	ds_load_2addr_b64 v[100:103], v166 offset0:192 offset1:248
	v_fma_f64 v[144:145], v[96:97], v[130:131], -v[225:226]
	v_fma_f64 v[146:147], v[237:238], v[130:131], v[132:133]
	v_fma_f64 v[130:131], v[98:99], v[158:159], -v[249:250]
	v_fma_f64 v[132:133], v[239:240], v[158:159], v[160:161]
	s_waitcnt lgkmcnt(5)
	v_mul_f64 v[205:206], v[86:87], v[187:188]
	v_mul_f64 v[187:188], v[26:27], v[187:188]
	v_fma_f64 v[158:159], v[112:113], v[177:178], -v[251:252]
	v_fma_f64 v[112:113], v[114:115], v[181:182], -v[253:254]
	s_waitcnt vmcnt(12) lgkmcnt(4)
	v_mul_f64 v[210:211], v[229:230], v[195:196]
	s_waitcnt vmcnt(11)
	v_mul_f64 v[212:213], v[231:232], v[199:200]
	v_fma_f64 v[114:115], v[243:244], v[181:182], v[183:184]
	v_mul_f64 v[181:182], v[82:83], v[199:200]
	v_mul_f64 v[183:184], v[80:81], v[195:196]
	v_fma_f64 v[162:163], v[241:242], v[177:178], v[170:171]
	s_waitcnt lgkmcnt(3)
	v_mul_f64 v[170:171], v[94:95], v[195:196]
	v_mul_f64 v[195:196], v[22:23], v[195:196]
	v_fma_f64 v[199:200], v[18:19], v[177:178], -v[227:228]
	v_fma_f64 v[177:178], v[2:3], v[177:178], v[179:180]
	s_waitcnt vmcnt(10) lgkmcnt(1)
	v_mul_f64 v[179:180], v[108:109], v[203:204]
	v_fma_f64 v[18:19], v[88:89], v[185:186], -v[172:173]
	v_fma_f64 v[2:3], v[90:91], v[189:190], -v[8:9]
	s_waitcnt vmcnt(9) lgkmcnt(0)
	v_mul_f64 v[8:9], v[100:101], v[217:218]
	v_mul_f64 v[88:89], v[36:37], v[217:218]
	ds_load_2addr_b64 v[104:107], v207 offset0:112 offset1:168
	ds_load_2addr_b64 v[96:99], v169 offset0:32 offset1:88
	ds_load_b64 v[160:161], v209 offset:15232
	v_mul_f64 v[203:204], v[40:41], v[203:204]
	s_waitcnt vmcnt(8)
	v_mul_f64 v[172:173], v[32:33], v[221:222]
	v_fma_f64 v[126:127], v[235:236], v[126:127], v[223:224]
	v_fma_f64 v[10:11], v[247:248], v[189:190], v[10:11]
	;; [unrolled: 1-line block ×3, first 2 shown]
	s_waitcnt vmcnt(0) lgkmcnt(0)
	s_barrier
	buffer_gl0_inv
	v_lshl_add_u32 v228, v175, 3, 0
	v_add_nc_u32_e32 v227, 0xc00, v209
	v_fma_f64 v[26:27], v[26:27], v[185:186], -v[205:206]
	v_mul_f64 v[90:91], v[104:105], v[221:222]
	v_mul_f64 v[191:192], v[96:97], v[54:55]
	;; [unrolled: 1-line block ×3, first 2 shown]
	v_fma_f64 v[86:87], v[86:87], v[185:186], v[187:188]
	v_mul_f64 v[185:186], v[110:111], v[50:51]
	v_mul_f64 v[50:51], v[42:43], v[50:51]
	v_fma_f64 v[80:81], v[80:81], v[193:194], -v[210:211]
	v_fma_f64 v[82:83], v[82:83], v[197:198], -v[212:213]
	v_mul_f64 v[187:188], v[102:103], v[70:71]
	v_mul_f64 v[70:71], v[38:39], v[70:71]
	v_fma_f64 v[181:182], v[231:232], v[197:198], v[181:182]
	v_mul_f64 v[197:198], v[84:85], v[66:67]
	v_mul_f64 v[66:67], v[24:25], v[66:67]
	v_fma_f64 v[183:184], v[229:230], v[193:194], v[183:184]
	v_mul_f64 v[205:206], v[106:107], v[62:63]
	v_mul_f64 v[62:63], v[34:35], v[62:63]
	v_fma_f64 v[22:23], v[22:23], v[193:194], -v[170:171]
	v_fma_f64 v[94:95], v[94:95], v[193:194], v[195:196]
	v_mul_f64 v[170:171], v[92:93], v[58:59]
	v_mul_f64 v[58:59], v[20:21], v[58:59]
	v_fma_f64 v[40:41], v[40:41], v[201:202], -v[179:180]
	v_mul_f64 v[179:180], v[98:99], v[78:79]
	v_mul_f64 v[78:79], v[30:31], v[78:79]
	v_fma_f64 v[8:9], v[36:37], v[215:216], -v[8:9]
	v_fma_f64 v[36:37], v[100:101], v[215:216], v[88:89]
	v_mul_f64 v[88:89], v[160:161], v[74:75]
	v_mul_f64 v[74:75], v[116:117], v[74:75]
	v_fma_f64 v[108:109], v[108:109], v[201:202], v[203:204]
	v_lshl_add_u32 v230, v176, 3, 0
	v_lshl_add_u32 v229, v174, 3, 0
	v_add_nc_u32_e32 v231, 0x1800, v228
	v_add_nc_u32_e32 v232, 0x1c00, v228
	s_delay_alu instid0(VALU_DEP_4) | instskip(NEXT) | instid1(VALU_DEP_4)
	v_add_nc_u32_e32 v235, 0x3000, v230
	v_add_nc_u32_e32 v233, 0x2000, v229
	;; [unrolled: 1-line block ×4, first 2 shown]
	v_fma_f64 v[32:33], v[32:33], v[219:220], -v[90:91]
	v_fma_f64 v[90:91], v[104:105], v[219:220], v[172:173]
	v_fma_f64 v[28:29], v[28:29], v[52:53], -v[191:192]
	v_fma_f64 v[52:53], v[96:97], v[52:53], v[54:55]
	;; [unrolled: 2-line block ×3, first 2 shown]
	v_add_f64 v[100:101], v[118:119], v[80:81]
	v_add_f64 v[80:81], v[118:119], -v[80:81]
	v_fma_f64 v[38:39], v[38:39], v[68:69], -v[187:188]
	v_fma_f64 v[50:51], v[102:103], v[68:69], v[70:71]
	v_add_f64 v[68:69], v[177:178], v[156:157]
	v_fma_f64 v[24:25], v[24:25], v[64:65], -v[197:198]
	v_fma_f64 v[54:55], v[84:85], v[64:65], v[66:67]
	v_add_f64 v[66:67], v[199:200], v[154:155]
	v_fma_f64 v[34:35], v[34:35], v[60:61], -v[205:206]
	v_fma_f64 v[60:61], v[106:107], v[60:61], v[62:63]
	v_add_f64 v[70:71], v[199:200], -v[154:155]
	v_add_f64 v[84:85], v[26:27], v[142:143]
	v_fma_f64 v[20:21], v[20:21], v[56:57], -v[170:171]
	v_fma_f64 v[56:57], v[92:93], v[56:57], v[58:59]
	v_add_f64 v[26:27], v[142:143], -v[26:27]
	v_fma_f64 v[30:31], v[30:31], v[76:77], -v[179:180]
	v_fma_f64 v[58:59], v[98:99], v[76:77], v[78:79]
	v_add_f64 v[76:77], v[140:141], v[94:95]
	v_add_f64 v[78:79], v[140:141], -v[94:95]
	v_fma_f64 v[62:63], v[116:117], v[72:73], -v[88:89]
	v_fma_f64 v[64:65], v[160:161], v[72:73], v[74:75]
	v_add_f64 v[72:73], v[177:178], -v[156:157]
	v_add_f64 v[74:75], v[134:135], v[22:23]
	v_add_f64 v[22:23], v[134:135], -v[22:23]
	v_add_f64 v[88:89], v[86:87], v[148:149]
	v_add_f64 v[86:87], v[148:149], -v[86:87]
	v_add_f64 v[104:105], v[120:121], -v[183:184]
	v_add_f64 v[106:107], v[18:19], v[124:125]
	v_add_f64 v[18:19], v[124:125], -v[18:19]
	v_add_f64 v[116:117], v[128:129], -v[189:190]
	v_add_f64 v[92:93], v[158:159], v[150:151]
	v_add_f64 v[94:95], v[162:163], v[152:153]
	v_add_f64 v[96:97], v[158:159], -v[150:151]
	v_add_f64 v[98:99], v[162:163], -v[152:153]
	v_add_f64 v[102:103], v[120:121], v[183:184]
	v_add_f64 v[110:111], v[189:190], v[128:129]
	;; [unrolled: 1-line block ×4, first 2 shown]
	v_add_f64 v[40:41], v[112:113], -v[40:41]
	v_add_f64 v[108:109], v[114:115], -v[108:109]
	v_add_f64 v[112:113], v[136:137], v[82:83]
	v_add_f64 v[114:115], v[138:139], v[181:182]
	v_add_f64 v[82:83], v[136:137], -v[82:83]
	v_add_f64 v[124:125], v[138:139], -v[181:182]
	v_add_f64 v[128:129], v[2:3], v[144:145]
	v_add_f64 v[134:135], v[10:11], v[146:147]
	;; [unrolled: 4-line block ×9, first 2 shown]
	v_add_f64 v[140:141], v[74:75], -v[66:67]
	v_add_f64 v[142:143], v[76:77], -v[68:69]
	;; [unrolled: 1-line block ×6, first 2 shown]
	v_add_f64 v[144:145], v[26:27], v[22:23]
	v_add_f64 v[146:147], v[86:87], v[78:79]
	v_add_f64 v[148:149], v[26:27], -v[22:23]
	v_add_f64 v[150:151], v[86:87], -v[78:79]
	;; [unrolled: 1-line block ×4, first 2 shown]
	v_add_f64 v[160:161], v[18:19], v[80:81]
	v_add_f64 v[162:163], v[116:117], v[104:105]
	v_add_f64 v[170:171], v[18:19], -v[80:81]
	v_add_f64 v[172:173], v[116:117], -v[104:105]
	;; [unrolled: 1-line block ×8, first 2 shown]
	v_add_f64 v[154:155], v[102:103], v[94:95]
	v_add_f64 v[158:159], v[102:103], -v[94:95]
	v_add_f64 v[102:103], v[110:111], -v[102:103]
	v_add_f64 v[176:177], v[114:115], v[120:121]
	v_add_f64 v[190:191], v[42:43], v[136:137]
	;; [unrolled: 1-line block ×3, first 2 shown]
	v_add_f64 v[156:157], v[100:101], -v[92:93]
	v_add_f64 v[92:93], v[92:93], -v[106:107]
	;; [unrolled: 1-line block ×4, first 2 shown]
	v_add_f64 v[174:175], v[112:113], v[118:119]
	v_add_f64 v[178:179], v[112:113], -v[118:119]
	v_add_f64 v[180:181], v[114:115], -v[120:121]
	;; [unrolled: 1-line block ×3, first 2 shown]
	v_add_f64 v[56:57], v[84:85], v[56:57]
	v_add_f64 v[60:61], v[88:89], v[60:61]
	v_add_f64 v[120:121], v[120:121], -v[134:135]
	v_add_f64 v[112:113], v[128:129], -v[112:113]
	v_mul_f64 v[66:67], v[66:67], s[16:17]
	v_mul_f64 v[68:69], v[68:69], s[16:17]
	;; [unrolled: 1-line block ×4, first 2 shown]
	v_add_f64 v[70:71], v[144:145], v[70:71]
	v_add_f64 v[72:73], v[146:147], v[72:73]
	v_mul_f64 v[144:145], v[148:149], s[20:21]
	v_mul_f64 v[146:147], v[150:151], s[20:21]
	;; [unrolled: 1-line block ×4, first 2 shown]
	v_add_f64 v[96:97], v[160:161], v[96:97]
	v_add_f64 v[98:99], v[162:163], v[98:99]
	v_mul_f64 v[160:161], v[170:171], s[20:21]
	v_mul_f64 v[162:163], v[172:173], s[20:21]
	v_add_f64 v[182:183], v[2:3], v[82:83]
	v_add_f64 v[186:187], v[2:3], -v[82:83]
	v_add_f64 v[82:83], v[82:83], -v[40:41]
	v_add_f64 v[210:211], v[62:63], v[130:131]
	v_mul_f64 v[170:171], v[80:81], s[6:7]
	v_mul_f64 v[172:173], v[104:105], s[6:7]
	v_add_f64 v[212:213], v[64:65], v[132:133]
	v_add_f64 v[114:115], v[134:135], -v[114:115]
	v_add_f64 v[184:185], v[10:11], v[124:125]
	v_add_f64 v[188:189], v[10:11], -v[124:125]
	v_add_f64 v[124:125], v[124:125], -v[108:109]
	v_add_f64 v[192:193], v[48:49], v[138:139]
	v_add_f64 v[194:195], v[42:43], -v[136:137]
	v_add_f64 v[196:197], v[48:49], -v[138:139]
	;; [unrolled: 1-line block ×5, first 2 shown]
	v_add_f64 v[198:199], v[32:33], v[28:29]
	v_add_f64 v[200:201], v[90:91], v[52:53]
	v_add_f64 v[202:203], v[32:33], -v[28:29]
	v_add_f64 v[204:205], v[90:91], -v[52:53]
	;; [unrolled: 1-line block ×4, first 2 shown]
	v_add_f64 v[219:220], v[20:21], v[24:25]
	v_fma_f64 v[74:75], v[74:75], s[2:3], v[66:67]
	v_fma_f64 v[66:67], v[140:141], s[14:15], -v[66:67]
	v_fma_f64 v[84:85], v[140:141], s[10:11], -v[84:85]
	v_fma_f64 v[76:77], v[76:77], s[2:3], v[68:69]
	v_fma_f64 v[88:89], v[142:143], s[10:11], -v[88:89]
	v_fma_f64 v[68:69], v[142:143], s[14:15], -v[68:69]
	v_add_f64 v[140:141], v[44:45], v[60:61]
	v_fma_f64 v[44:45], v[26:27], s[18:19], v[144:145]
	v_fma_f64 v[142:143], v[86:87], s[18:19], v[146:147]
	v_fma_f64 v[26:27], v[26:27], s[22:23], -v[148:149]
	v_fma_f64 v[86:87], v[86:87], s[22:23], -v[150:151]
	v_add_f64 v[223:224], v[20:21], -v[24:25]
	v_fma_f64 v[148:149], v[18:19], s[18:19], v[160:161]
	v_fma_f64 v[150:151], v[116:117], s[18:19], v[162:163]
	v_fma_f64 v[80:81], v[80:81], s[6:7], -v[160:161]
	v_fma_f64 v[104:105], v[104:105], s[6:7], -v[162:163]
	scratch_load_b128 v[160:163], off, off offset:64 ; 16-byte Folded Reload
	v_add_f64 v[24:25], v[24:25], -v[38:39]
	v_add_f64 v[110:111], v[110:111], v[154:155]
	v_mul_f64 v[154:155], v[102:103], s[2:3]
	v_add_f64 v[134:135], v[134:135], v[176:177]
	v_add_f64 v[122:123], v[122:123], v[190:191]
	;; [unrolled: 1-line block ×3, first 2 shown]
	v_add_f64 v[2:3], v[40:41], -v[2:3]
	v_add_f64 v[215:216], v[62:63], -v[130:131]
	;; [unrolled: 1-line block ×7, first 2 shown]
	v_add_f64 v[221:222], v[34:35], v[30:31]
	v_add_f64 v[225:226], v[34:35], -v[30:31]
	v_add_f64 v[30:31], v[30:31], -v[50:51]
	v_add_f64 v[106:107], v[106:107], v[152:153]
	v_mul_f64 v[92:93], v[92:93], s[16:17]
	v_mul_f64 v[94:95], v[94:95], s[16:17]
	v_mul_f64 v[152:153], v[100:101], s[2:3]
	v_add_f64 v[128:129], v[128:129], v[174:175]
	v_add_f64 v[40:41], v[182:183], v[40:41]
	v_mul_f64 v[118:119], v[118:119], s[16:17]
	v_mul_f64 v[120:121], v[120:121], s[16:17]
	;; [unrolled: 1-line block ×5, first 2 shown]
	v_add_f64 v[54:55], v[54:55], v[210:211]
	v_add_f64 v[58:59], v[58:59], v[212:213]
	v_add_f64 v[10:11], v[108:109], -v[10:11]
	v_add_f64 v[48:49], v[126:127], -v[48:49]
	;; [unrolled: 1-line block ×5, first 2 shown]
	v_add_f64 v[108:109], v[184:185], v[108:109]
	v_mul_f64 v[176:177], v[114:115], s[2:3]
	v_mul_f64 v[184:185], v[188:189], s[20:21]
	;; [unrolled: 1-line block ×3, first 2 shown]
	v_add_f64 v[126:127], v[126:127], v[192:193]
	v_add_f64 v[8:9], v[198:199], v[8:9]
	;; [unrolled: 1-line block ×3, first 2 shown]
	v_mul_f64 v[136:137], v[136:137], s[16:17]
	v_mul_f64 v[138:139], v[138:139], s[16:17]
	;; [unrolled: 1-line block ×7, first 2 shown]
	v_add_f64 v[38:39], v[219:220], v[38:39]
	v_mul_f64 v[219:220], v[223:224], s[20:21]
	v_mul_f64 v[223:224], v[24:25], s[6:7]
	v_fma_f64 v[78:79], v[78:79], s[6:7], -v[146:147]
	v_fma_f64 v[146:147], v[158:159], s[10:11], -v[154:155]
	v_add_f64 v[154:155], v[4:5], v[134:135]
	v_fma_f64 v[56:57], v[56:57], s[0:1], v[12:13]
	v_add_f64 v[34:35], v[50:51], -v[34:35]
	v_add_f64 v[50:51], v[221:222], v[50:51]
	v_mul_f64 v[130:131], v[130:131], s[16:17]
	v_mul_f64 v[132:133], v[132:133], s[16:17]
	;; [unrolled: 1-line block ×6, first 2 shown]
	v_fma_f64 v[22:23], v[22:23], s[6:7], -v[144:145]
	v_add_f64 v[14:15], v[14:15], v[106:107]
	v_add_f64 v[144:145], v[46:47], v[110:111]
	v_fma_f64 v[46:47], v[100:101], s[2:3], v[92:93]
	v_fma_f64 v[100:101], v[102:103], s[2:3], v[94:95]
	v_fma_f64 v[102:103], v[156:157], s[10:11], -v[152:153]
	v_fma_f64 v[94:95], v[158:159], s[14:15], -v[94:95]
	;; [unrolled: 1-line block ×4, first 2 shown]
	v_fma_f64 v[4:5], v[112:113], s[2:3], v[118:119]
	v_fma_f64 v[112:113], v[114:115], s[2:3], v[120:121]
	v_fma_f64 v[114:115], v[178:179], s[10:11], -v[174:175]
	v_fma_f64 v[118:119], v[178:179], s[14:15], -v[118:119]
	v_fma_f64 v[158:159], v[2:3], s[18:19], v[182:183]
	v_fma_f64 v[82:83], v[82:83], s[6:7], -v[182:183]
	v_fma_f64 v[2:3], v[2:3], s[22:23], -v[186:187]
	v_add_f64 v[16:17], v[16:17], v[54:55]
	v_add_f64 v[178:179], v[0:1], v[58:59]
	v_fma_f64 v[60:61], v[60:61], s[0:1], v[140:141]
	v_mul_f64 v[192:193], v[48:49], s[2:3]
	v_fma_f64 v[92:93], v[156:157], s[14:15], -v[92:93]
	v_fma_f64 v[156:157], v[180:181], s[10:11], -v[176:177]
	;; [unrolled: 1-line block ×3, first 2 shown]
	v_add_f64 v[170:171], v[6:7], v[126:127]
	v_fma_f64 v[6:7], v[42:43], s[2:3], v[136:137]
	v_fma_f64 v[42:43], v[48:49], s[2:3], v[138:139]
	v_fma_f64 v[48:49], v[194:195], s[10:11], -v[190:191]
	v_fma_f64 v[136:137], v[194:195], s[14:15], -v[136:137]
	v_fma_f64 v[174:175], v[32:33], s[18:19], v[198:199]
	v_fma_f64 v[176:177], v[90:91], s[18:19], v[200:201]
	v_fma_f64 v[28:29], v[28:29], s[6:7], -v[198:199]
	v_fma_f64 v[52:53], v[52:53], s[6:7], -v[200:201]
	;; [unrolled: 1-line block ×4, first 2 shown]
	v_fma_f64 v[182:183], v[20:21], s[18:19], v[219:220]
	v_fma_f64 v[24:25], v[24:25], s[6:7], -v[219:220]
	v_fma_f64 v[20:21], v[20:21], s[22:23], -v[223:224]
	v_fma_f64 v[142:143], v[72:73], s[12:13], v[142:143]
	v_fma_f64 v[134:135], v[134:135], s[0:1], v[154:155]
	v_add_f64 v[74:75], v[74:75], v[56:57]
	v_fma_f64 v[120:121], v[180:181], s[14:15], -v[120:121]
	v_fma_f64 v[0:1], v[62:63], s[2:3], v[130:131]
	v_fma_f64 v[62:63], v[64:65], s[2:3], v[132:133]
	v_fma_f64 v[64:65], v[215:216], s[10:11], -v[210:211]
	v_fma_f64 v[180:181], v[217:218], s[10:11], -v[212:213]
	;; [unrolled: 1-line block ×5, first 2 shown]
	v_fma_f64 v[44:45], v[70:71], s[12:13], v[44:45]
	v_fma_f64 v[22:23], v[70:71], s[12:13], v[22:23]
	v_fma_f64 v[78:79], v[72:73], s[12:13], v[78:79]
	v_fma_f64 v[106:107], v[106:107], s[0:1], v[14:15]
	v_fma_f64 v[110:111], v[110:111], s[0:1], v[144:145]
	v_fma_f64 v[26:27], v[70:71], s[12:13], v[26:27]
	v_fma_f64 v[70:71], v[72:73], s[12:13], v[86:87]
	v_fma_f64 v[72:73], v[96:97], s[12:13], v[148:149]
	v_fma_f64 v[86:87], v[98:99], s[12:13], v[150:151]
	v_fma_f64 v[80:81], v[96:97], s[12:13], v[80:81]
	v_fma_f64 v[104:105], v[98:99], s[12:13], v[104:105]
	v_fma_f64 v[18:19], v[96:97], s[12:13], v[18:19]
	v_fma_f64 v[96:97], v[98:99], s[12:13], v[116:117]
	v_fma_f64 v[98:99], v[40:41], s[12:13], v[158:159]
	v_fma_f64 v[82:83], v[40:41], s[12:13], v[82:83]
	v_fma_f64 v[2:3], v[40:41], s[12:13], v[2:3]
	v_fma_f64 v[40:41], v[54:55], s[0:1], v[16:17]
	v_fma_f64 v[54:55], v[58:59], s[0:1], v[178:179]
	v_add_f64 v[66:67], v[66:67], v[56:57]
	v_add_f64 v[56:57], v[84:85], v[56:57]
	;; [unrolled: 1-line block ×5, first 2 shown]
	v_fma_f64 v[124:125], v[108:109], s[12:13], v[124:125]
	v_fma_f64 v[58:59], v[8:9], s[12:13], v[174:175]
	;; [unrolled: 1-line block ×8, first 2 shown]
	v_fma_f64 v[172:173], v[196:197], s[10:11], -v[192:193]
	v_fma_f64 v[138:139], v[196:197], s[14:15], -v[138:139]
	v_fma_f64 v[126:127], v[126:127], s[0:1], v[170:171]
	v_fma_f64 v[30:31], v[50:51], s[12:13], v[30:31]
	v_add_f64 v[46:47], v[46:47], v[106:107]
	v_add_f64 v[88:89], v[100:101], v[110:111]
	;; [unrolled: 1-line block ×14, first 2 shown]
	v_add_f64 v[132:133], v[56:57], -v[78:79]
	v_add_f64 v[56:57], v[78:79], v[56:57]
	v_add_f64 v[78:79], v[60:61], -v[22:23]
	v_add_f64 v[130:131], v[68:69], -v[26:27]
	v_add_f64 v[68:69], v[26:27], v[68:69]
	v_add_f64 v[26:27], v[74:75], -v[142:143]
	v_add_f64 v[42:43], v[42:43], v[126:127]
	v_add_f64 v[156:157], v[24:25], v[64:65]
	v_add_f64 v[150:151], v[54:55], -v[20:21]
	v_add_f64 v[158:159], v[64:65], -v[24:25]
	s_delay_alu instid0(VALU_DEP_4)
	v_add_f64 v[146:147], v[58:59], v[42:43]
	s_waitcnt vmcnt(0)
	v_add_f64 v[162:163], v[162:163], v[122:123]
	v_add_f64 v[152:153], v[160:161], v[128:129]
	v_fma_f64 v[160:161], v[10:11], s[18:19], v[184:185]
	v_fma_f64 v[10:11], v[10:11], s[22:23], -v[188:189]
	v_fma_f64 v[184:185], v[34:35], s[18:19], v[221:222]
	v_fma_f64 v[34:35], v[34:35], s[22:23], -v[225:226]
	v_fma_f64 v[122:123], v[122:123], s[0:1], v[162:163]
	v_fma_f64 v[128:129], v[128:129], s[0:1], v[152:153]
	;; [unrolled: 1-line block ×6, first 2 shown]
	v_add_f64 v[38:39], v[112:113], v[134:135]
	v_fma_f64 v[84:85], v[50:51], s[12:13], v[184:185]
	v_fma_f64 v[34:35], v[50:51], s[12:13], v[34:35]
	v_add_f64 v[134:135], v[22:23], v[60:61]
	v_add_f64 v[22:23], v[66:67], -v[70:71]
	v_add_f64 v[60:61], v[96:97], v[90:91]
	v_add_f64 v[90:91], v[90:91], -v[96:97]
	v_add_f64 v[160:161], v[20:21], v[54:55]
	v_add_f64 v[6:7], v[6:7], v[122:123]
	;; [unrolled: 1-line block ×9, first 2 shown]
	ds_store_2addr_b64 v209, v[12:13], v[122:123] offset1:56
	ds_store_2addr_b64 v209, v[128:129], v[132:133] offset0:112 offset1:168
	ds_store_2addr_b64 v165, v[56:57], v[22:23] offset0:96 offset1:152
	;; [unrolled: 1-line block ×3, first 2 shown]
	v_add_f64 v[136:137], v[80:81], v[100:101]
	v_add_f64 v[80:81], v[100:101], -v[80:81]
	v_add_f64 v[100:101], v[108:109], v[6:7]
	v_add_f64 v[6:7], v[6:7], -v[108:109]
	scratch_load_b32 v108, off, off offset:48 ; 4-byte Folded Reload
	v_add_f64 v[114:115], v[172:173], v[126:127]
	v_add_f64 v[118:119], v[138:139], v[126:127]
	v_add_f64 v[126:127], v[76:77], -v[44:45]
	v_add_f64 v[70:71], v[44:45], v[76:77]
	v_add_f64 v[44:45], v[86:87], v[46:47]
	v_add_f64 v[66:67], v[94:95], -v[104:105]
	v_add_f64 v[94:95], v[104:105], v[94:95]
	v_add_f64 v[76:77], v[92:93], -v[18:19]
	v_add_f64 v[92:93], v[18:19], v[92:93]
	v_add_f64 v[18:19], v[46:47], -v[86:87]
	v_add_f64 v[46:47], v[116:117], v[4:5]
	v_add_f64 v[86:87], v[10:11], v[106:107]
	v_add_f64 v[96:97], v[50:51], -v[124:125]
	v_add_f64 v[50:51], v[124:125], v[50:51]
	v_add_f64 v[10:11], v[106:107], -v[10:11]
	;; [unrolled: 2-line block ×4, first 2 shown]
	v_add_f64 v[52:53], v[84:85], v[0:1]
	v_add_f64 v[112:113], v[34:35], v[120:121]
	v_add_f64 v[124:125], v[40:41], -v[30:31]
	v_add_f64 v[30:31], v[30:31], v[40:41]
	v_add_f64 v[34:35], v[120:121], -v[34:35]
	v_add_f64 v[4:5], v[4:5], -v[116:117]
	;; [unrolled: 1-line block ×4, first 2 shown]
	v_add_f64 v[72:73], v[72:73], v[88:89]
	v_add_f64 v[84:85], v[38:39], -v[98:99]
	v_add_f64 v[88:89], v[110:111], -v[2:3]
	v_add_f64 v[116:117], v[82:83], v[102:103]
	v_add_f64 v[82:83], v[102:103], -v[82:83]
	v_add_f64 v[102:103], v[2:3], v[110:111]
	v_add_f64 v[98:99], v[98:99], v[38:39]
	v_add_f64 v[120:121], v[42:43], -v[58:59]
	v_add_f64 v[148:149], v[62:63], -v[36:37]
	v_add_f64 v[172:173], v[36:37], v[62:63]
	s_waitcnt vmcnt(0)
	ds_store_b64 v108, v[44:45]
	ds_store_2addr_b64 v227, v[60:61], v[66:67] offset0:120 offset1:176
	ds_store_2addr_b64 v164, v[94:95], v[90:91] offset0:104 offset1:160
	;; [unrolled: 1-line block ×10, first 2 shown]
	ds_store_2addr_b64 v236, v[30:31], v[34:35] offset1:56
	ds_store_b64 v209, v[18:19] offset:5824
	ds_store_b64 v228, v[4:5] offset:8960
	;; [unrolled: 1-line block ×4, first 2 shown]
	v_add_nc_u32_e32 v4, 0x2000, v209
	v_add_f64 v[138:139], v[118:119], -v[8:9]
	v_add_f64 v[142:143], v[28:29], v[114:115]
	v_add_f64 v[114:115], v[114:115], -v[28:29]
	v_add_f64 v[118:119], v[8:9], v[118:119]
	s_waitcnt lgkmcnt(0)
	s_barrier
	buffer_gl0_inv
	ds_load_2addr_b64 v[0:3], v209 offset1:56
	ds_load_2addr_b64 v[12:15], v166 offset0:80 offset1:136
	ds_load_2addr_b64 v[16:19], v168 offset0:16 offset1:72
	ds_load_2addr_b64 v[20:23], v4 offset0:96 offset1:152
	ds_load_2addr_b64 v[24:27], v169 offset0:32 offset1:88
	ds_load_2addr_b64 v[32:35], v166 offset0:192 offset1:248
	ds_load_2addr_b64 v[28:31], v255 offset0:80 offset1:136
	ds_load_2addr_b64 v[4:7], v209 offset0:112 offset1:168
	ds_load_2addr_b64 v[36:39], v168 offset0:128 offset1:184
	ds_load_2addr_b64 v[40:43], v169 offset0:144 offset1:200
	ds_load_2addr_b64 v[48:51], v164 offset0:48 offset1:104
	ds_load_2addr_b64 v[44:47], v167 offset0:64 offset1:120
	ds_load_2addr_b64 v[8:11], v165 offset0:96 offset1:152
	ds_load_2addr_b64 v[52:55], v207 offset0:112 offset1:168
	ds_load_2addr_b64 v[56:59], v214 offset1:56
	ds_load_2addr_b64 v[64:67], v164 offset0:160 offset1:216
	ds_load_2addr_b64 v[60:63], v167 offset0:176 offset1:232
	ds_load_b64 v[109:110], v209 offset:15232
	s_waitcnt lgkmcnt(0)
	s_barrier
	buffer_gl0_inv
	ds_store_2addr_b64 v209, v[140:141], v[126:127] offset1:56
	ds_store_2addr_b64 v209, v[130:131], v[134:135] offset0:112 offset1:168
	ds_store_2addr_b64 v165, v[78:79], v[68:69] offset0:96 offset1:152
	;; [unrolled: 1-line block ×3, first 2 shown]
	ds_store_b64 v108, v[74:75]
	ds_store_2addr_b64 v227, v[76:77], v[136:137] offset0:120 offset1:176
	ds_store_2addr_b64 v164, v[80:81], v[92:93] offset0:104 offset1:160
	;; [unrolled: 1-line block ×10, first 2 shown]
	ds_store_2addr_b64 v236, v[158:159], v[160:161] offset1:56
	ds_store_b64 v209, v[72:73] offset:5824
	ds_store_b64 v228, v[98:99] offset:8960
	;; [unrolled: 1-line block ×4, first 2 shown]
	s_waitcnt lgkmcnt(0)
	s_barrier
	buffer_gl0_inv
	s_and_saveexec_b32 s0, vcc_lo
	s_cbranch_execz .LBB0_29
; %bb.28:
	v_dual_mov_b32 v108, 0 :: v_dual_lshlrev_b32 v143, 2, v208
	v_add_nc_u32_e32 v68, 0x150, v208
	v_add_nc_u32_e32 v70, 0xe0, v208
	s_delay_alu instid0(VALU_DEP_3) | instskip(NEXT) | instid1(VALU_DEP_3)
	v_dual_mov_b32 v71, v108 :: v_dual_add_nc_u32 v96, 0x70, v208
	v_dual_mov_b32 v120, v108 :: v_dual_lshlrev_b32 v107, 2, v68
	s_clause 0x1
	scratch_store_b32 off, v68, off offset:88
	scratch_store_b32 off, v70, off offset:92
	v_dual_mov_b32 v91, v108 :: v_dual_lshlrev_b32 v72, 2, v70
	v_lshlrev_b64 v[68:69], 4, v[107:108]
	v_add_nc_u32_e32 v70, 0x118, v208
	v_dual_mov_b32 v144, v108 :: v_dual_lshlrev_b32 v119, 2, v96
	v_add_nc_u32_e32 v195, 0x1000, v209
	v_add_nc_u32_e32 v207, 0x2800, v209
	s_delay_alu instid0(VALU_DEP_4) | instskip(SKIP_2) | instid1(VALU_DEP_3)
	v_lshlrev_b32_e32 v70, 2, v70
	v_add_co_u32 v73, vcc_lo, s4, v68
	v_add_co_ci_u32_e32 v74, vcc_lo, s5, v69, vcc_lo
	v_lshlrev_b64 v[68:69], 4, v[70:71]
	s_delay_alu instid0(VALU_DEP_3) | instskip(NEXT) | instid1(VALU_DEP_3)
	v_add_co_u32 v115, vcc_lo, 0x1840, v73
	v_add_co_ci_u32_e32 v116, vcc_lo, 0, v74, vcc_lo
	v_add_co_u32 v70, vcc_lo, 0x1000, v73
	v_add_co_ci_u32_e32 v71, vcc_lo, 0, v74, vcc_lo
	v_add_co_u32 v76, vcc_lo, s4, v68
	v_add_co_ci_u32_e32 v77, vcc_lo, s5, v69, vcc_lo
	v_mov_b32_e32 v73, v108
	s_delay_alu instid0(VALU_DEP_3) | instskip(NEXT) | instid1(VALU_DEP_3)
	v_add_co_u32 v74, vcc_lo, 0x1000, v76
	v_add_co_ci_u32_e32 v75, vcc_lo, 0, v77, vcc_lo
	s_delay_alu instid0(VALU_DEP_3)
	v_lshlrev_b64 v[80:81], 4, v[72:73]
	v_add_co_u32 v88, vcc_lo, 0x1840, v76
	v_add_nc_u32_e32 v72, 0xa8, v208
	global_load_b128 v[68:71], v[70:71], off offset:2112
	v_add_co_ci_u32_e32 v89, vcc_lo, 0, v77, vcc_lo
	v_add_co_u32 v94, vcc_lo, s4, v80
	v_lshlrev_b32_e32 v90, 2, v72
	s_clause 0x2
	global_load_b128 v[76:79], v[115:116], off offset:32
	global_load_b128 v[84:87], v[74:75], off offset:2112
	;; [unrolled: 1-line block ×3, first 2 shown]
	v_add_co_ci_u32_e32 v95, vcc_lo, s5, v81, vcc_lo
	global_load_b128 v[80:83], v[88:89], off offset:32
	v_add_co_u32 v92, vcc_lo, 0x1000, v94
	v_lshlrev_b64 v[90:91], 4, v[90:91]
	v_add_co_ci_u32_e32 v93, vcc_lo, 0, v95, vcc_lo
	v_add_co_u32 v100, vcc_lo, 0x1840, v94
	v_add_co_ci_u32_e32 v101, vcc_lo, 0, v95, vcc_lo
	s_delay_alu instid0(VALU_DEP_4) | instskip(SKIP_2) | instid1(VALU_DEP_3)
	v_add_co_u32 v111, vcc_lo, s4, v90
	v_add_co_ci_u32_e32 v112, vcc_lo, s5, v91, vcc_lo
	v_add_nc_u32_e32 v94, 56, v208
	v_add_co_u32 v121, vcc_lo, 0x1000, v111
	s_delay_alu instid0(VALU_DEP_3)
	v_add_co_ci_u32_e32 v122, vcc_lo, 0, v112, vcc_lo
	v_add_co_u32 v131, vcc_lo, 0x1840, v111
	v_add_co_ci_u32_e32 v132, vcc_lo, 0, v112, vcc_lo
	v_lshlrev_b32_e32 v135, 2, v94
	s_clause 0x6
	global_load_b128 v[92:95], v[92:93], off offset:2112
	global_load_b128 v[104:107], v[100:101], off offset:48
	;; [unrolled: 1-line block ×7, first 2 shown]
	v_lshlrev_b64 v[136:137], 4, v[119:120]
	s_clause 0x3
	global_load_b128 v[119:122], v[121:122], off offset:2112
	global_load_b128 v[123:126], v[131:132], off offset:48
	;; [unrolled: 1-line block ×4, first 2 shown]
	v_lshlrev_b64 v[159:160], 4, v[143:144]
	v_add_nc_u32_e32 v191, 0x3800, v209
	v_add_nc_u32_e32 v196, 0x2000, v209
	;; [unrolled: 1-line block ×3, first 2 shown]
	v_add_co_u32 v138, vcc_lo, s4, v136
	v_mov_b32_e32 v136, v108
	v_add_co_ci_u32_e32 v137, vcc_lo, s5, v137, vcc_lo
	s_delay_alu instid0(VALU_DEP_3) | instskip(NEXT) | instid1(VALU_DEP_3)
	v_add_co_u32 v147, vcc_lo, 0x1840, v138
	v_lshlrev_b64 v[135:136], 4, v[135:136]
	s_delay_alu instid0(VALU_DEP_3) | instskip(SKIP_2) | instid1(VALU_DEP_4)
	v_add_co_ci_u32_e32 v148, vcc_lo, 0, v137, vcc_lo
	v_add_co_u32 v145, vcc_lo, 0x1000, v138
	v_add_co_ci_u32_e32 v146, vcc_lo, 0, v137, vcc_lo
	v_add_co_u32 v149, vcc_lo, s4, v135
	v_add_co_ci_u32_e32 v150, vcc_lo, s5, v136, vcc_lo
	s_clause 0x1
	global_load_b128 v[135:138], v[147:148], off offset:32
	global_load_b128 v[139:142], v[147:148], off offset:16
	v_add_co_u32 v151, vcc_lo, 0x1000, v149
	v_add_co_ci_u32_e32 v152, vcc_lo, 0, v150, vcc_lo
	v_add_co_u32 v163, vcc_lo, 0x1840, v149
	v_add_co_ci_u32_e32 v164, vcc_lo, 0, v150, vcc_lo
	v_add_co_u32 v167, vcc_lo, s4, v159
	s_clause 0x3
	global_load_b128 v[143:146], v[145:146], off offset:2112
	global_load_b128 v[147:150], v[147:148], off offset:48
	;; [unrolled: 1-line block ×4, first 2 shown]
	v_add_co_ci_u32_e32 v168, vcc_lo, s5, v160, vcc_lo
	s_clause 0x1
	global_load_b128 v[159:162], v[163:164], off offset:32
	global_load_b128 v[163:166], v[163:164], off offset:16
	v_add_co_u32 v179, vcc_lo, 0x1840, v167
	v_add_co_ci_u32_e32 v180, vcc_lo, 0, v168, vcc_lo
	v_add_co_u32 v171, vcc_lo, 0x1000, v167
	v_add_co_ci_u32_e32 v172, vcc_lo, 0, v168, vcc_lo
	s_clause 0x3
	global_load_b128 v[167:170], v[179:180], off offset:16
	global_load_b128 v[171:174], v[171:172], off offset:2112
	;; [unrolled: 1-line block ×4, first 2 shown]
	ds_load_2addr_b64 v[183:186], v195 offset0:160 offset1:216
	ds_load_2addr_b64 v[187:190], v207 offset0:176 offset1:232
	ds_load_2addr_b64 v[191:194], v191 offset1:56
	v_add_nc_u32_e32 v242, 0x3000, v209
	v_add_nc_u32_e32 v241, 0x1800, v209
	;; [unrolled: 1-line block ×3, first 2 shown]
	ds_load_b64 v[214:215], v209 offset:15232
	v_add_nc_u32_e32 v246, 0x400, v209
	s_mov_b32 s10, 0x134454ff
	s_mov_b32 s11, 0xbfee6f0e
	;; [unrolled: 1-line block ×10, first 2 shown]
	s_waitcnt vmcnt(27) lgkmcnt(3)
	v_mul_f64 v[199:200], v[68:69], v[185:186]
	v_mul_f64 v[201:202], v[70:71], v[185:186]
	v_add_nc_u32_e32 v185, 0x1c00, v209
	s_waitcnt vmcnt(26) lgkmcnt(2)
	v_mul_f64 v[210:211], v[76:77], v[189:190]
	s_waitcnt vmcnt(25)
	v_mul_f64 v[203:204], v[84:85], v[183:184]
	v_mul_f64 v[205:206], v[86:87], v[183:184]
	ds_load_2addr_b64 v[183:186], v185 offset0:112 offset1:168
	v_mul_f64 v[212:213], v[78:79], v[189:190]
	s_waitcnt vmcnt(23)
	v_mul_f64 v[216:217], v[80:81], v[187:188]
	v_mul_f64 v[218:219], v[82:83], v[187:188]
	s_waitcnt lgkmcnt(2)
	v_mul_f64 v[220:221], v[72:73], v[193:194]
	v_mul_f64 v[222:223], v[74:75], v[193:194]
	ds_load_2addr_b64 v[187:190], v195 offset0:48 offset1:104
	s_waitcnt vmcnt(21)
	v_mul_f64 v[224:225], v[104:105], v[191:192]
	v_mul_f64 v[226:227], v[106:107], v[191:192]
	s_waitcnt vmcnt(20) lgkmcnt(1)
	v_mul_f64 v[228:229], v[96:97], v[185:186]
	v_mul_f64 v[230:231], v[98:99], v[185:186]
	s_waitcnt vmcnt(18)
	v_mul_f64 v[232:233], v[100:101], v[183:184]
	v_mul_f64 v[234:235], v[102:103], v[183:184]
	s_waitcnt lgkmcnt(0)
	v_mul_f64 v[236:237], v[92:93], v[189:190]
	v_mul_f64 v[189:190], v[94:95], v[189:190]
	s_waitcnt vmcnt(15)
	v_mul_f64 v[238:239], v[119:120], v[187:188]
	v_mul_f64 v[187:188], v[121:122], v[187:188]
	ds_load_2addr_b64 v[191:194], v209 offset0:112 offset1:168
	ds_load_2addr_b64 v[183:186], v196 offset0:96 offset1:152
	;; [unrolled: 1-line block ×3, first 2 shown]
	v_fma_f64 v[199:200], v[66:67], v[70:71], v[199:200]
	v_fma_f64 v[201:202], v[66:67], v[68:69], -v[201:202]
	v_fma_f64 v[203:204], v[64:65], v[86:87], v[203:204]
	v_fma_f64 v[205:206], v[64:65], v[84:85], -v[205:206]
	ds_load_2addr_b64 v[64:67], v207 offset0:64 offset1:120
	ds_load_2addr_b64 v[68:71], v241 offset0:128 offset1:184
	v_fma_f64 v[210:211], v[62:63], v[78:79], v[210:211]
	v_fma_f64 v[212:213], v[62:63], v[76:77], -v[212:213]
	ds_load_2addr_b64 v[76:79], v242 offset0:144 offset1:200
	v_fma_f64 v[216:217], v[60:61], v[82:83], v[216:217]
	v_fma_f64 v[218:219], v[60:61], v[80:81], -v[218:219]
	ds_load_2addr_b64 v[60:63], v240 offset0:192 offset1:248
	ds_load_2addr_b64 v[80:83], v243 offset0:80 offset1:136
	;; [unrolled: 1-line block ×3, first 2 shown]
	v_fma_f64 v[220:221], v[58:59], v[74:75], v[220:221]
	v_fma_f64 v[58:59], v[58:59], v[72:73], -v[222:223]
	ds_load_2addr_b64 v[72:75], v242 offset0:32 offset1:88
	v_mul_f64 v[222:223], v[111:112], v[214:215]
	v_mul_f64 v[214:215], v[113:114], v[214:215]
	v_fma_f64 v[106:107], v[56:57], v[106:107], v[224:225]
	v_fma_f64 v[56:57], v[56:57], v[104:105], -v[226:227]
	s_waitcnt lgkmcnt(8)
	v_mul_f64 v[104:105], v[115:116], v[183:184]
	v_mul_f64 v[183:184], v[117:118], v[183:184]
	s_waitcnt lgkmcnt(6)
	v_mul_f64 v[224:225], v[88:89], v[66:67]
	v_mul_f64 v[66:67], v[90:91], v[66:67]
	v_fma_f64 v[98:99], v[54:55], v[98:99], v[228:229]
	v_fma_f64 v[96:97], v[54:55], v[96:97], -v[230:231]
	s_waitcnt vmcnt(12) lgkmcnt(5)
	v_mul_f64 v[226:227], v[131:132], v[70:71]
	v_mul_f64 v[228:229], v[127:128], v[64:65]
	v_fma_f64 v[102:103], v[52:53], v[102:103], v[232:233]
	v_fma_f64 v[100:101], v[52:53], v[100:101], -v[234:235]
	s_waitcnt lgkmcnt(4)
	v_mul_f64 v[230:231], v[123:124], v[78:79]
	v_mul_f64 v[78:79], v[125:126], v[78:79]
	;; [unrolled: 1-line block ×4, first 2 shown]
	s_waitcnt vmcnt(10)
	v_mul_f64 v[232:233], v[139:140], v[68:69]
	s_waitcnt vmcnt(9) lgkmcnt(3)
	v_mul_f64 v[234:235], v[143:144], v[62:63]
	v_fma_f64 v[92:93], v[50:51], v[92:93], -v[189:190]
	s_waitcnt lgkmcnt(2)
	v_mul_f64 v[189:190], v[135:136], v[82:83]
	v_mul_f64 v[62:63], v[145:146], v[62:63]
	;; [unrolled: 1-line block ×4, first 2 shown]
	v_fma_f64 v[119:120], v[48:49], v[119:120], -v[187:188]
	s_waitcnt vmcnt(4) lgkmcnt(1)
	v_mul_f64 v[187:188], v[163:164], v[86:87]
	s_waitcnt lgkmcnt(0)
	v_mul_f64 v[242:243], v[155:156], v[74:75]
	v_mul_f64 v[74:75], v[157:158], v[74:75]
	;; [unrolled: 1-line block ×3, first 2 shown]
	ds_load_2addr_b64 v[52:55], v246 offset0:96 offset1:152
	v_fma_f64 v[94:95], v[50:51], v[94:95], v[236:237]
	v_mul_f64 v[236:237], v[147:148], v[76:77]
	v_mul_f64 v[76:77], v[149:150], v[76:77]
	v_fma_f64 v[113:114], v[109:110], v[113:114], v[222:223]
	v_fma_f64 v[109:110], v[109:110], v[111:112], -v[214:215]
	s_waitcnt vmcnt(1)
	v_mul_f64 v[222:223], v[175:176], v[72:73]
	v_mul_f64 v[72:73], v[177:178], v[72:73]
	v_fma_f64 v[121:122], v[48:49], v[121:122], v[238:239]
	v_mul_f64 v[238:239], v[151:152], v[60:61]
	v_mul_f64 v[240:241], v[159:160], v[80:81]
	;; [unrolled: 1-line block ×3, first 2 shown]
	v_fma_f64 v[104:105], v[20:21], v[117:118], v[104:105]
	v_fma_f64 v[20:21], v[20:21], v[115:116], -v[183:184]
	v_fma_f64 v[90:91], v[46:47], v[90:91], v[224:225]
	v_fma_f64 v[46:47], v[46:47], v[88:89], -v[66:67]
	v_mul_f64 v[80:81], v[161:162], v[80:81]
	v_mul_f64 v[111:112], v[167:168], v[84:85]
	v_fma_f64 v[66:67], v[38:39], v[133:134], v[226:227]
	v_fma_f64 v[88:89], v[44:45], v[129:130], v[228:229]
	v_mul_f64 v[214:215], v[171:172], v[197:198]
	s_waitcnt vmcnt(0)
	v_mul_f64 v[244:245], v[179:180], v[185:186]
	v_fma_f64 v[117:118], v[42:43], v[125:126], v[230:231]
	v_fma_f64 v[123:124], v[42:43], v[123:124], -v[78:79]
	v_fma_f64 v[38:39], v[38:39], v[131:132], -v[70:71]
	v_fma_f64 v[42:43], v[44:45], v[127:128], -v[64:65]
	v_add_f64 v[44:45], v[199:200], v[195:196]
	v_add_f64 v[64:65], v[12:13], v[201:202]
	v_fma_f64 v[70:71], v[36:37], v[141:142], v[232:233]
	v_fma_f64 v[78:79], v[34:35], v[145:146], v[234:235]
	;; [unrolled: 1-line block ×3, first 2 shown]
	v_fma_f64 v[34:35], v[34:35], v[143:144], -v[62:63]
	v_fma_f64 v[36:37], v[36:37], v[139:140], -v[68:69]
	;; [unrolled: 1-line block ×3, first 2 shown]
	v_fma_f64 v[30:31], v[18:19], v[165:166], v[187:188]
	v_fma_f64 v[131:132], v[26:27], v[157:158], v[242:243]
	v_fma_f64 v[133:134], v[26:27], v[155:156], -v[74:75]
	v_fma_f64 v[62:63], v[18:19], v[163:164], -v[86:87]
	s_waitcnt lgkmcnt(0)
	v_add_f64 v[18:19], v[203:204], v[54:55]
	v_add_f64 v[26:27], v[10:11], v[205:206]
	v_mul_f64 v[84:85], v[169:170], v[84:85]
	v_mul_f64 v[197:198], v[173:174], v[197:198]
	;; [unrolled: 1-line block ×3, first 2 shown]
	v_fma_f64 v[127:128], v[40:41], v[149:150], v[236:237]
	v_fma_f64 v[129:130], v[40:41], v[147:148], -v[76:77]
	v_fma_f64 v[135:136], v[24:25], v[177:178], v[222:223]
	v_fma_f64 v[137:138], v[24:25], v[175:176], -v[72:73]
	v_add_f64 v[24:25], v[199:200], v[113:114]
	v_add_f64 v[145:146], v[201:202], v[109:110]
	v_fma_f64 v[40:41], v[32:33], v[153:154], v[238:239]
	v_add_f64 v[139:140], v[104:105], v[210:211]
	v_fma_f64 v[76:77], v[28:29], v[161:162], v[240:241]
	v_fma_f64 v[60:61], v[32:33], v[151:152], -v[60:61]
	v_add_f64 v[32:33], v[199:200], -v[104:105]
	v_fma_f64 v[74:75], v[28:29], v[159:160], -v[80:81]
	v_fma_f64 v[80:81], v[16:17], v[169:170], v[111:112]
	v_add_f64 v[28:29], v[20:21], -v[212:213]
	v_add_f64 v[141:142], v[20:21], -v[201:202]
	v_fma_f64 v[82:83], v[14:15], v[173:174], v[214:215]
	v_fma_f64 v[86:87], v[22:23], v[181:182], v[244:245]
	v_add_f64 v[149:150], v[201:202], -v[20:21]
	v_add_f64 v[153:154], v[98:99], -v[203:204]
	v_add_f64 v[159:160], v[203:204], v[220:221]
	v_add_f64 v[161:162], v[96:97], -v[218:219]
	v_add_f64 v[44:45], v[104:105], v[44:45]
	v_add_f64 v[64:65], v[20:21], v[64:65]
	;; [unrolled: 1-line block ×3, first 2 shown]
	v_add_f64 v[163:164], v[203:204], -v[98:99]
	v_add_f64 v[169:170], v[96:97], -v[205:206]
	v_add_f64 v[173:174], v[205:206], v[58:59]
	v_add_f64 v[175:176], v[98:99], -v[216:217]
	v_add_f64 v[177:178], v[203:204], -v[220:221]
	v_add_f64 v[183:184], v[94:95], v[106:107]
	v_add_f64 v[185:186], v[102:103], v[90:91]
	;; [unrolled: 1-line block ×6, first 2 shown]
	v_fma_f64 v[72:73], v[16:17], v[167:168], -v[84:85]
	v_fma_f64 v[111:112], v[14:15], v[171:172], -v[197:198]
	;; [unrolled: 1-line block ×3, first 2 shown]
	v_add_f64 v[14:15], v[104:105], -v[199:200]
	v_add_f64 v[22:23], v[201:202], -v[109:110]
	;; [unrolled: 1-line block ×3, first 2 shown]
	v_add_f64 v[167:168], v[98:99], v[216:217]
	v_add_f64 v[98:99], v[205:206], -v[96:97]
	v_add_f64 v[96:97], v[96:97], v[218:219]
	v_add_f64 v[201:202], v[92:93], v[56:57]
	;; [unrolled: 1-line block ×10, first 2 shown]
	v_fma_f64 v[24:25], v[24:25], -0.5, v[195:196]
	v_fma_f64 v[139:140], v[139:140], -0.5, v[195:196]
	v_add_f64 v[195:196], v[8:9], v[92:93]
	v_fma_f64 v[145:146], v[145:146], -0.5, v[12:13]
	ds_load_2addr_b64 v[48:51], v209 offset1:56
	v_add_f64 v[16:17], v[210:211], -v[113:114]
	v_add_f64 v[44:45], v[210:211], v[44:45]
	v_add_f64 v[64:65], v[64:65], v[212:213]
	v_add_f64 v[115:116], v[113:114], -v[210:211]
	v_add_f64 v[143:144], v[212:213], -v[109:110]
	;; [unrolled: 1-line block ×10, first 2 shown]
	v_add_f64 v[18:19], v[216:217], v[18:19]
	v_add_f64 v[26:27], v[26:27], v[218:219]
	v_add_f64 v[187:188], v[90:91], -v[106:107]
	v_add_f64 v[189:190], v[92:93], -v[56:57]
	;; [unrolled: 1-line block ×8, first 2 shown]
	v_add_f64 v[240:241], v[40:41], v[131:132]
	v_fma_f64 v[12:13], v[20:21], -0.5, v[12:13]
	v_add_f64 v[20:21], v[30:31], v[76:77]
	v_add_f64 v[242:243], v[82:83], v[135:136]
	;; [unrolled: 1-line block ×4, first 2 shown]
	v_fma_f64 v[159:160], v[159:160], -0.5, v[54:55]
	v_fma_f64 v[54:55], v[167:168], -0.5, v[54:55]
	;; [unrolled: 1-line block ×4, first 2 shown]
	v_add_f64 v[183:184], v[62:63], v[74:75]
	v_add_f64 v[185:186], v[111:112], v[137:138]
	v_fma_f64 v[173:174], v[173:174], -0.5, v[10:11]
	v_fma_f64 v[96:97], v[96:97], -0.5, v[10:11]
	v_fma_f64 v[201:202], v[201:202], -0.5, v[8:9]
	v_fma_f64 v[203:204], v[203:204], -0.5, v[8:9]
	v_add_f64 v[244:245], v[72:73], v[84:85]
	v_add_f64 v[92:93], v[92:93], -v[100:101]
	v_add_f64 v[246:247], v[56:57], -v[46:47]
	v_add_f64 v[10:11], v[113:114], v[44:45]
	v_add_f64 v[8:9], v[64:65], v[109:110]
	v_add_f64 v[44:45], v[66:67], -v[121:122]
	v_add_f64 v[64:65], v[121:122], v[193:194]
	v_fma_f64 v[109:110], v[224:225], -0.5, v[193:194]
	v_fma_f64 v[113:114], v[226:227], -0.5, v[193:194]
	;; [unrolled: 1-line block ×4, first 2 shown]
	v_add_f64 v[191:192], v[78:79], v[191:192]
	v_add_f64 v[226:227], v[6:7], v[119:120]
	v_fma_f64 v[228:229], v[232:233], -0.5, v[6:7]
	v_fma_f64 v[230:231], v[234:235], -0.5, v[6:7]
	;; [unrolled: 1-line block ×4, first 2 shown]
	v_add_f64 v[236:237], v[4:5], v[34:35]
	v_add_f64 v[238:239], v[88:89], -v[117:118]
	v_add_f64 v[102:103], v[102:103], v[214:215]
	v_add_f64 v[100:101], v[100:101], v[195:196]
	;; [unrolled: 1-line block ×4, first 2 shown]
	v_fma_f64 v[18:19], v[28:29], s[10:11], v[24:25]
	v_fma_f64 v[26:27], v[104:105], s[6:7], v[145:146]
	v_fma_f64 v[24:25], v[28:29], s[6:7], v[24:25]
	v_add_f64 v[213:214], v[119:120], -v[123:124]
	s_waitcnt lgkmcnt(0)
	v_add_f64 v[195:196], v[40:41], v[50:51]
	v_fma_f64 v[240:241], v[240:241], -0.5, v[50:51]
	v_fma_f64 v[20:21], v[20:21], -0.5, v[50:51]
	;; [unrolled: 1-line block ×4, first 2 shown]
	v_add_f64 v[220:221], v[82:83], v[48:49]
	v_add_f64 v[248:249], v[2:3], v[60:61]
	v_fma_f64 v[48:49], v[104:105], s[10:11], v[145:146]
	v_fma_f64 v[145:146], v[218:219], -0.5, v[2:3]
	v_fma_f64 v[183:184], v[183:184], -0.5, v[2:3]
	;; [unrolled: 1-line block ×4, first 2 shown]
	v_add_f64 v[244:245], v[0:1], v[111:112]
	v_add_f64 v[50:51], v[38:39], -v[42:43]
	v_add_f64 v[0:1], v[121:122], -v[66:67]
	v_add_f64 v[32:33], v[32:33], v[115:116]
	v_add_f64 v[2:3], v[117:118], -v[88:89]
	v_add_f64 v[58:59], v[141:142], v[143:144]
	v_add_f64 v[115:116], v[149:150], v[151:152]
	;; [unrolled: 1-line block ×6, first 2 shown]
	v_add_f64 v[165:166], v[78:79], -v[70:71]
	v_add_f64 v[169:170], v[181:182], v[187:188]
	v_add_f64 v[171:172], v[127:128], -v[125:126]
	v_add_f64 v[179:180], v[199:200], v[205:206]
	v_add_f64 v[199:200], v[222:223], v[209:210]
	v_add_f64 v[205:206], v[36:37], -v[34:35]
	v_add_f64 v[92:93], v[92:93], v[246:247]
	;; [unrolled: 3-line block ×3, first 2 shown]
	v_add_f64 v[100:101], v[34:35], -v[129:130]
	v_fma_f64 v[187:188], v[22:23], s[2:3], v[18:19]
	v_fma_f64 v[26:27], v[147:148], s[4:5], v[26:27]
	;; [unrolled: 1-line block ×3, first 2 shown]
	v_add_f64 v[222:223], v[44:45], v[238:239]
	v_add_f64 v[246:247], v[34:35], -v[36:37]
	v_add_f64 v[34:35], v[66:67], v[64:65]
	v_add_f64 v[44:45], v[70:71], v[191:192]
	v_fma_f64 v[66:67], v[22:23], s[6:7], v[139:140]
	v_fma_f64 v[22:23], v[22:23], s[10:11], v[139:140]
	v_add_f64 v[94:95], v[94:95], -v[106:107]
	v_add_f64 v[14:15], v[14:15], v[16:17]
	v_add_f64 v[16:17], v[38:39], -v[119:120]
	v_add_f64 v[141:142], v[42:43], -v[123:124]
	;; [unrolled: 1-line block ×6, first 2 shown]
	v_fma_f64 v[48:49], v[147:148], s[2:3], v[48:49]
	v_add_f64 v[238:239], v[70:71], -v[125:126]
	v_add_f64 v[38:39], v[38:39], v[226:227]
	v_add_f64 v[250:251], v[0:1], v[2:3]
	v_fma_f64 v[70:71], v[147:148], s[10:11], v[12:13]
	v_fma_f64 v[147:148], v[147:148], s[6:7], v[12:13]
	s_clause 0x1
	scratch_store_b128 off, v[8:11], off
	scratch_store_b128 off, v[4:7], off offset:16
	v_add_f64 v[149:150], v[123:124], -v[42:43]
	v_add_f64 v[121:122], v[121:122], -v[117:118]
	;; [unrolled: 1-line block ×4, first 2 shown]
	v_add_f64 v[165:166], v[165:166], v[171:172]
	v_fma_f64 v[171:172], v[157:158], s[6:7], v[54:55]
	v_fma_f64 v[54:55], v[157:158], s[10:11], v[54:55]
	v_add_f64 v[191:192], v[60:61], -v[133:134]
	v_add_f64 v[226:227], v[30:31], -v[40:41]
	v_add_f64 v[18:19], v[106:107], v[90:91]
	v_fma_f64 v[90:91], v[177:178], s[6:7], v[96:97]
	v_add_f64 v[106:107], v[36:37], v[236:237]
	v_fma_f64 v[36:37], v[189:190], s[6:7], v[52:53]
	v_add_f64 v[139:140], v[62:63], -v[74:75]
	v_fma_f64 v[0:1], v[58:59], s[0:1], v[26:27]
	v_fma_f64 v[26:27], v[177:178], s[10:11], v[96:97]
	;; [unrolled: 1-line block ×3, first 2 shown]
	v_add_f64 v[195:196], v[30:31], v[195:196]
	v_add_f64 v[88:89], v[88:89], v[34:35]
	;; [unrolled: 1-line block ×3, first 2 shown]
	v_fma_f64 v[44:45], v[50:51], s[10:11], v[109:110]
	v_fma_f64 v[66:67], v[28:29], s[2:3], v[66:67]
	;; [unrolled: 1-line block ×5, first 2 shown]
	v_add_f64 v[141:142], v[16:17], v[141:142]
	v_add_f64 v[16:17], v[46:47], v[56:57]
	v_fma_f64 v[46:47], v[175:176], s[6:7], v[173:174]
	v_add_f64 v[153:154], v[153:154], v[163:164]
	v_fma_f64 v[163:164], v[161:162], s[10:11], v[159:160]
	v_fma_f64 v[159:160], v[161:162], s[6:7], v[159:160]
	;; [unrolled: 1-line block ×8, first 2 shown]
	v_add_f64 v[167:168], v[38:39], v[42:43]
	v_fma_f64 v[38:39], v[94:95], s[10:11], v[203:204]
	v_fma_f64 v[42:43], v[94:95], s[6:7], v[203:204]
	;; [unrolled: 1-line block ×9, first 2 shown]
	v_add_f64 v[119:120], v[119:120], v[149:150]
	v_fma_f64 v[90:91], v[175:176], s[2:3], v[90:91]
	v_add_f64 v[149:150], v[40:41], -v[30:31]
	v_fma_f64 v[34:35], v[211:212], s[6:7], v[201:202]
	v_fma_f64 v[58:59], v[211:212], s[10:11], v[201:202]
	;; [unrolled: 1-line block ×5, first 2 shown]
	v_add_f64 v[175:176], v[62:63], -v[60:61]
	v_fma_f64 v[236:237], v[197:198], s[2:3], v[36:37]
	v_add_f64 v[60:61], v[60:61], -v[62:63]
	v_fma_f64 v[8:9], v[213:214], s[2:3], v[44:45]
	v_fma_f64 v[44:45], v[191:192], s[10:11], v[20:21]
	;; [unrolled: 1-line block ×8, first 2 shown]
	v_add_f64 v[228:229], v[30:31], -v[76:77]
	v_fma_f64 v[163:164], v[157:158], s[2:3], v[163:164]
	v_fma_f64 v[157:158], v[157:158], s[4:5], v[159:160]
	;; [unrolled: 1-line block ×3, first 2 shown]
	scratch_store_b128 off, v[0:3], off offset:48 ; 16-byte Folded Spill
	v_fma_f64 v[56:57], v[177:178], s[2:3], v[56:57]
	v_fma_f64 v[177:178], v[100:101], s[6:7], v[224:225]
	v_fma_f64 v[224:225], v[189:190], s[2:3], v[24:25]
	v_add_f64 v[230:231], v[40:41], -v[131:132]
	v_add_f64 v[2:3], v[80:81], -v[86:87]
	v_fma_f64 v[48:49], v[189:190], s[4:5], v[48:49]
	v_fma_f64 v[52:53], v[197:198], s[4:5], v[52:53]
	;; [unrolled: 1-line block ×3, first 2 shown]
	v_add_f64 v[213:214], v[82:83], -v[135:136]
	v_fma_f64 v[24:25], v[115:116], s[0:1], v[104:105]
	v_add_f64 v[104:105], v[80:81], -v[82:83]
	v_add_f64 v[82:83], v[82:83], -v[80:81]
	v_fma_f64 v[161:162], v[100:101], s[2:3], v[161:162]
	v_fma_f64 v[100:101], v[100:101], s[4:5], v[193:194]
	;; [unrolled: 1-line block ×5, first 2 shown]
	v_add_f64 v[80:81], v[80:81], v[220:221]
	v_add_f64 v[197:198], v[111:112], -v[137:138]
	v_fma_f64 v[254:255], v[94:95], s[4:5], v[34:35]
	v_fma_f64 v[36:37], v[98:99], s[0:1], v[203:204]
	v_add_f64 v[98:99], v[62:63], v[248:249]
	v_fma_f64 v[94:95], v[94:95], s[2:3], v[58:59]
	v_add_f64 v[0:1], v[72:73], -v[84:85]
	v_fma_f64 v[10:11], v[211:212], s[4:5], v[38:39]
	v_fma_f64 v[62:63], v[222:223], s[0:1], v[8:9]
	v_add_f64 v[8:9], v[205:206], v[209:210]
	v_fma_f64 v[211:212], v[211:212], s[2:3], v[42:43]
	v_fma_f64 v[70:71], v[250:251], s[0:1], v[4:5]
	;; [unrolled: 1-line block ×8, first 2 shown]
	v_add_f64 v[163:164], v[72:73], v[244:245]
	v_fma_f64 v[34:35], v[143:144], s[0:1], v[157:158]
	v_fma_f64 v[28:29], v[155:156], s[0:1], v[46:47]
	;; [unrolled: 1-line block ×10, first 2 shown]
	v_add_f64 v[115:116], v[86:87], -v[135:136]
	v_add_f64 v[151:152], v[135:136], -v[86:87]
	;; [unrolled: 1-line block ×5, first 2 shown]
	v_fma_f64 v[201:202], v[213:214], s[10:11], v[217:218]
	v_fma_f64 v[205:206], v[213:214], s[6:7], v[217:218]
	v_add_f64 v[64:65], v[129:130], -v[68:69]
	v_add_f64 v[252:253], v[76:77], -v[131:132]
	v_add_f64 v[219:220], v[86:87], v[80:81]
	v_fma_f64 v[169:170], v[197:198], s[6:7], v[215:216]
	v_fma_f64 v[155:156], v[199:200], s[0:1], v[254:255]
	;; [unrolled: 1-line block ×3, first 2 shown]
	v_add_f64 v[189:190], v[74:75], -v[133:134]
	v_fma_f64 v[48:49], v[199:200], s[0:1], v[94:95]
	v_fma_f64 v[94:95], v[230:231], s[6:7], v[183:184]
	;; [unrolled: 1-line block ×9, first 2 shown]
	scratch_load_b64 v[4:5], off, off offset:40 ; 8-byte Folded Reload
	v_add_f64 v[183:184], v[84:85], -v[137:138]
	v_fma_f64 v[199:200], v[2:3], s[10:11], v[185:186]
	v_fma_f64 v[147:148], v[121:122], s[4:5], v[147:148]
	;; [unrolled: 1-line block ×12, first 2 shown]
	v_add_f64 v[163:164], v[163:164], v[84:85]
	v_add_f64 v[96:97], v[131:132], -v[76:77]
	v_fma_f64 v[193:194], v[139:140], s[2:3], v[193:194]
	v_fma_f64 v[44:45], v[139:140], s[4:5], v[44:45]
	v_add_f64 v[139:140], v[76:77], v[195:196]
	v_add_f64 v[215:216], v[98:99], v[74:75]
	v_add_f64 v[106:107], v[106:107], v[68:69]
	v_add_f64 v[217:218], v[104:105], v[115:116]
	v_add_f64 v[151:152], v[82:83], v[151:152]
	v_add_f64 v[185:186], v[246:247], v[64:65]
	v_add_f64 v[209:210], v[226:227], v[252:253]
	v_fma_f64 v[169:170], v[0:1], s[2:3], v[169:170]
	v_fma_f64 v[46:47], v[230:231], s[2:3], v[46:47]
	;; [unrolled: 1-line block ×3, first 2 shown]
	v_add_f64 v[175:176], v[175:176], v[189:190]
	v_add_f64 v[90:91], v[133:134], -v[74:75]
	v_fma_f64 v[74:75], v[250:251], s[0:1], v[6:7]
	v_add_f64 v[76:77], v[167:168], v[123:124]
	v_fma_f64 v[10:11], v[230:231], s[4:5], v[10:11]
	v_fma_f64 v[143:144], v[197:198], s[2:3], v[143:144]
	v_add_f64 v[123:124], v[135:136], v[219:220]
	v_fma_f64 v[195:196], v[228:229], s[4:5], v[92:93]
	v_fma_f64 v[145:146], v[197:198], s[4:5], v[145:146]
	;; [unrolled: 1-line block ×4, first 2 shown]
	v_add_f64 v[171:172], v[179:180], v[183:184]
	v_fma_f64 v[179:180], v[213:214], s[2:3], v[199:200]
	v_add_f64 v[183:184], v[72:73], v[111:112]
	v_fma_f64 v[64:65], v[141:142], s[0:1], v[121:122]
	v_fma_f64 v[211:212], v[228:229], s[2:3], v[94:95]
	;; [unrolled: 1-line block ×8, first 2 shown]
	v_add_f64 v[78:79], v[117:118], v[88:89]
	v_fma_f64 v[6:7], v[213:214], s[4:5], v[109:110]
	v_add_f64 v[121:122], v[163:164], v[137:138]
	v_add_f64 v[149:150], v[149:150], v[96:97]
	v_fma_f64 v[94:95], v[165:166], s[0:1], v[181:182]
	v_fma_f64 v[86:87], v[153:154], s[0:1], v[100:101]
	v_add_f64 v[119:120], v[131:132], v[139:140]
	v_add_f64 v[117:118], v[215:216], v[133:134]
	;; [unrolled: 1-line block ×4, first 2 shown]
	v_fma_f64 v[173:174], v[238:239], s[4:5], v[173:174]
	v_fma_f64 v[82:83], v[153:154], s[0:1], v[161:162]
	;; [unrolled: 1-line block ×5, first 2 shown]
	v_add_f64 v[189:190], v[60:61], v[90:91]
	v_fma_f64 v[60:61], v[141:142], s[0:1], v[147:148]
	v_fma_f64 v[90:91], v[165:166], s[0:1], v[177:178]
	;; [unrolled: 1-line block ×11, first 2 shown]
	v_mov_b32_e32 v209, v108
	v_fma_f64 v[84:85], v[8:9], s[0:1], v[113:114]
	scratch_load_b64 v[8:9], off, off offset:32 ; 8-byte Folded Reload
	v_fma_f64 v[125:126], v[171:172], s[0:1], v[6:7]
	v_fma_f64 v[115:116], v[149:150], s[0:1], v[44:45]
	v_lshlrev_b64 v[0:1], 4, v[208:209]
	v_fma_f64 v[111:112], v[149:150], s[0:1], v[193:194]
	s_waitcnt vmcnt(0)
	v_mov_b32_e32 v9, v108
	v_fma_f64 v[88:89], v[185:186], s[0:1], v[173:174]
	v_fma_f64 v[109:110], v[189:190], s[0:1], v[195:196]
	;; [unrolled: 1-line block ×3, first 2 shown]
	v_add_co_u32 v141, vcc_lo, s8, v4
	v_add_co_ci_u32_e32 v142, vcc_lo, s9, v5, vcc_lo
	s_delay_alu instid0(VALU_DEP_2) | instskip(NEXT) | instid1(VALU_DEP_2)
	v_add_co_u32 v0, vcc_lo, v141, v0
	v_add_co_ci_u32_e32 v1, vcc_lo, v142, v1, vcc_lo
	s_clause 0x1
	global_store_b128 v[0:1], v[121:124], off
	global_store_b128 v[0:1], v[117:120], off offset:896
	v_add_co_u32 v2, vcc_lo, 0x1000, v0
	v_add_co_ci_u32_e32 v3, vcc_lo, 0, v1, vcc_lo
	v_add_co_u32 v4, vcc_lo, 0x3000, v0
	v_add_co_ci_u32_e32 v5, vcc_lo, 0, v1, vcc_lo
	v_add_co_u32 v6, vcc_lo, 0x4000, v0
	v_add_co_ci_u32_e32 v7, vcc_lo, 0, v1, vcc_lo
	scratch_load_b64 v[44:45], off, off offset:80 ; 8-byte Folded Reload
	v_add_co_u32 v10, vcc_lo, 0x6000, v0
	v_add_co_ci_u32_e32 v11, vcc_lo, 0, v1, vcc_lo
	s_clause 0x5
	global_store_b128 v[4:5], v[129:132], off offset:256
	global_store_b128 v[4:5], v[104:107], off offset:1152
	;; [unrolled: 1-line block ×6, first 2 shown]
	scratch_load_b32 v92, off, off offset:92 ; 4-byte Folded Reload
	s_waitcnt vmcnt(1)
	v_mov_b32_e32 v45, v108
	v_or_b32_e32 v107, 0x540, v208
	v_lshlrev_b64 v[8:9], 4, v[8:9]
	s_delay_alu instid0(VALU_DEP_1) | instskip(NEXT) | instid1(VALU_DEP_2)
	v_add_co_u32 v8, vcc_lo, v141, v8
	v_add_co_ci_u32_e32 v9, vcc_lo, v142, v9, vcc_lo
	v_lshlrev_b64 v[44:45], 4, v[44:45]
	s_delay_alu instid0(VALU_DEP_1) | instskip(SKIP_2) | instid1(VALU_DEP_3)
	v_add_co_u32 v44, vcc_lo, v141, v44
	s_waitcnt vmcnt(0)
	v_mul_hi_u32 v92, 0x5397829d, v92
	v_add_co_ci_u32_e32 v45, vcc_lo, v142, v45, vcc_lo
	v_add_co_u32 v46, vcc_lo, 0x5000, v0
	v_add_co_ci_u32_e32 v47, vcc_lo, 0, v1, vcc_lo
	s_clause 0x5
	global_store_b128 v[44:45], v[84:87], off
	global_store_b128 v[46:47], v[80:83], off offset:128
	global_store_b128 v[10:11], v[109:112], off offset:1408
	;; [unrolled: 1-line block ×5, first 2 shown]
	v_lshrrev_b32_e32 v78, 7, v92
	v_lshlrev_b64 v[44:45], 4, v[107:108]
	v_add_co_u32 v76, vcc_lo, 0x2000, v0
	v_add_co_ci_u32_e32 v77, vcc_lo, 0, v1, vcc_lo
	s_delay_alu instid0(VALU_DEP_4) | instskip(NEXT) | instid1(VALU_DEP_4)
	v_mul_u32_u24_e32 v107, 0x620, v78
	v_add_co_u32 v44, vcc_lo, v141, v44
	v_add_co_ci_u32_e32 v45, vcc_lo, v142, v45, vcc_lo
	s_delay_alu instid0(VALU_DEP_3)
	v_lshlrev_b64 v[78:79], 4, v[107:108]
	s_clause 0x5
	global_store_b128 v[6:7], v[125:128], off offset:2432
	global_store_b128 v[4:5], v[64:67], off offset:2944
	;; [unrolled: 1-line block ×3, first 2 shown]
	global_store_b128 v[44:45], v[60:63], off
	global_store_b128 v[8:9], v[113:116], off
	global_store_b128 v[10:11], v[68:71], off offset:3200
	scratch_load_b32 v63, off, off offset:88 ; 4-byte Folded Reload
	v_add_co_u32 v4, vcc_lo, v0, v78
	v_add_co_ci_u32_e32 v5, vcc_lo, v1, v79, vcc_lo
	s_delay_alu instid0(VALU_DEP_2) | instskip(NEXT) | instid1(VALU_DEP_2)
	v_add_co_u32 v8, vcc_lo, 0x2000, v4
	v_add_co_ci_u32_e32 v9, vcc_lo, 0, v5, vcc_lo
	v_add_co_u32 v10, vcc_lo, 0x3000, v4
	v_add_co_ci_u32_e32 v11, vcc_lo, 0, v5, vcc_lo
	;; [unrolled: 2-line block ×4, first 2 shown]
	s_clause 0x4
	global_store_b128 v[4:5], v[16:19], off offset:3584
	global_store_b128 v[8:9], v[56:59], off offset:1664
	;; [unrolled: 1-line block ×4, first 2 shown]
	global_store_b128 v[60:61], v[52:55], off
	scratch_load_b128 v[8:11], off, off offset:16 ; 16-byte Folded Reload
	v_add_co_u32 v0, vcc_lo, 0x7000, v0
	v_add_co_ci_u32_e32 v1, vcc_lo, 0, v1, vcc_lo
	s_waitcnt vmcnt(0)
	s_clause 0x3
	global_store_b128 v[2:3], v[8:11], off offset:384
	global_store_b128 v[6:7], v[32:35], off offset:640
	;; [unrolled: 1-line block ×4, first 2 shown]
	scratch_load_b128 v[16:19], off, off    ; 16-byte Folded Reload
	v_mul_hi_u32 v62, 0x5397829d, v63
	global_store_b128 v[0:1], v[36:39], off offset:896
	v_lshrrev_b32_e32 v62, 7, v62
	s_delay_alu instid0(VALU_DEP_1) | instskip(NEXT) | instid1(VALU_DEP_1)
	v_mad_u32_u24 v107, 0x620, v62, v63
	v_lshlrev_b64 v[2:3], 4, v[107:108]
	s_delay_alu instid0(VALU_DEP_1) | instskip(NEXT) | instid1(VALU_DEP_2)
	v_add_co_u32 v2, vcc_lo, v141, v2
	v_add_co_ci_u32_e32 v3, vcc_lo, v142, v3, vcc_lo
	s_delay_alu instid0(VALU_DEP_2) | instskip(NEXT) | instid1(VALU_DEP_2)
	v_add_co_u32 v0, vcc_lo, 0x1000, v2
	v_add_co_ci_u32_e32 v1, vcc_lo, 0, v3, vcc_lo
	v_add_co_u32 v4, vcc_lo, 0x3000, v2
	v_add_co_ci_u32_e32 v5, vcc_lo, 0, v3, vcc_lo
	;; [unrolled: 2-line block ×4, first 2 shown]
	s_waitcnt vmcnt(0)
	s_clause 0x2
	global_store_b128 v[2:3], v[16:19], off
	global_store_b128 v[0:1], v[24:27], off offset:2176
	global_store_b128 v[4:5], v[12:15], off offset:256
	scratch_load_b128 v[0:3], off, off offset:48 ; 16-byte Folded Reload
	s_waitcnt vmcnt(0)
	s_clause 0x1
	global_store_b128 v[6:7], v[0:3], off offset:2432
	global_store_b128 v[8:9], v[20:23], off offset:512
.LBB0_29:
	s_endpgm
	.section	.rodata,"a",@progbits
	.p2align	6, 0x0
	.amdhsa_kernel fft_rtc_fwd_len1960_factors_4_7_2_7_5_wgs_56_tpt_56_halfLds_dp_ip_CI_unitstride_sbrr_dirReg
		.amdhsa_group_segment_fixed_size 0
		.amdhsa_private_segment_fixed_size 100
		.amdhsa_kernarg_size 88
		.amdhsa_user_sgpr_count 15
		.amdhsa_user_sgpr_dispatch_ptr 0
		.amdhsa_user_sgpr_queue_ptr 0
		.amdhsa_user_sgpr_kernarg_segment_ptr 1
		.amdhsa_user_sgpr_dispatch_id 0
		.amdhsa_user_sgpr_private_segment_size 0
		.amdhsa_wavefront_size32 1
		.amdhsa_uses_dynamic_stack 0
		.amdhsa_enable_private_segment 1
		.amdhsa_system_sgpr_workgroup_id_x 1
		.amdhsa_system_sgpr_workgroup_id_y 0
		.amdhsa_system_sgpr_workgroup_id_z 0
		.amdhsa_system_sgpr_workgroup_info 0
		.amdhsa_system_vgpr_workitem_id 0
		.amdhsa_next_free_vgpr 256
		.amdhsa_next_free_sgpr 26
		.amdhsa_reserve_vcc 1
		.amdhsa_float_round_mode_32 0
		.amdhsa_float_round_mode_16_64 0
		.amdhsa_float_denorm_mode_32 3
		.amdhsa_float_denorm_mode_16_64 3
		.amdhsa_dx10_clamp 1
		.amdhsa_ieee_mode 1
		.amdhsa_fp16_overflow 0
		.amdhsa_workgroup_processor_mode 1
		.amdhsa_memory_ordered 1
		.amdhsa_forward_progress 0
		.amdhsa_shared_vgpr_count 0
		.amdhsa_exception_fp_ieee_invalid_op 0
		.amdhsa_exception_fp_denorm_src 0
		.amdhsa_exception_fp_ieee_div_zero 0
		.amdhsa_exception_fp_ieee_overflow 0
		.amdhsa_exception_fp_ieee_underflow 0
		.amdhsa_exception_fp_ieee_inexact 0
		.amdhsa_exception_int_div_zero 0
	.end_amdhsa_kernel
	.text
.Lfunc_end0:
	.size	fft_rtc_fwd_len1960_factors_4_7_2_7_5_wgs_56_tpt_56_halfLds_dp_ip_CI_unitstride_sbrr_dirReg, .Lfunc_end0-fft_rtc_fwd_len1960_factors_4_7_2_7_5_wgs_56_tpt_56_halfLds_dp_ip_CI_unitstride_sbrr_dirReg
                                        ; -- End function
	.section	.AMDGPU.csdata,"",@progbits
; Kernel info:
; codeLenInByte = 25156
; NumSgprs: 28
; NumVgprs: 256
; ScratchSize: 100
; MemoryBound: 1
; FloatMode: 240
; IeeeMode: 1
; LDSByteSize: 0 bytes/workgroup (compile time only)
; SGPRBlocks: 3
; VGPRBlocks: 31
; NumSGPRsForWavesPerEU: 28
; NumVGPRsForWavesPerEU: 256
; Occupancy: 5
; WaveLimiterHint : 1
; COMPUTE_PGM_RSRC2:SCRATCH_EN: 1
; COMPUTE_PGM_RSRC2:USER_SGPR: 15
; COMPUTE_PGM_RSRC2:TRAP_HANDLER: 0
; COMPUTE_PGM_RSRC2:TGID_X_EN: 1
; COMPUTE_PGM_RSRC2:TGID_Y_EN: 0
; COMPUTE_PGM_RSRC2:TGID_Z_EN: 0
; COMPUTE_PGM_RSRC2:TIDIG_COMP_CNT: 0
	.text
	.p2alignl 7, 3214868480
	.fill 96, 4, 3214868480
	.type	__hip_cuid_fe53427afc4b8f82,@object ; @__hip_cuid_fe53427afc4b8f82
	.section	.bss,"aw",@nobits
	.globl	__hip_cuid_fe53427afc4b8f82
__hip_cuid_fe53427afc4b8f82:
	.byte	0                               ; 0x0
	.size	__hip_cuid_fe53427afc4b8f82, 1

	.ident	"AMD clang version 19.0.0git (https://github.com/RadeonOpenCompute/llvm-project roc-6.4.0 25133 c7fe45cf4b819c5991fe208aaa96edf142730f1d)"
	.section	".note.GNU-stack","",@progbits
	.addrsig
	.addrsig_sym __hip_cuid_fe53427afc4b8f82
	.amdgpu_metadata
---
amdhsa.kernels:
  - .args:
      - .actual_access:  read_only
        .address_space:  global
        .offset:         0
        .size:           8
        .value_kind:     global_buffer
      - .offset:         8
        .size:           8
        .value_kind:     by_value
      - .actual_access:  read_only
        .address_space:  global
        .offset:         16
        .size:           8
        .value_kind:     global_buffer
      - .actual_access:  read_only
        .address_space:  global
        .offset:         24
        .size:           8
        .value_kind:     global_buffer
      - .offset:         32
        .size:           8
        .value_kind:     by_value
      - .actual_access:  read_only
        .address_space:  global
        .offset:         40
        .size:           8
        .value_kind:     global_buffer
      - .actual_access:  read_only
        .address_space:  global
        .offset:         48
        .size:           8
        .value_kind:     global_buffer
      - .offset:         56
        .size:           4
        .value_kind:     by_value
      - .actual_access:  read_only
        .address_space:  global
        .offset:         64
        .size:           8
        .value_kind:     global_buffer
      - .actual_access:  read_only
        .address_space:  global
        .offset:         72
        .size:           8
        .value_kind:     global_buffer
      - .address_space:  global
        .offset:         80
        .size:           8
        .value_kind:     global_buffer
    .group_segment_fixed_size: 0
    .kernarg_segment_align: 8
    .kernarg_segment_size: 88
    .language:       OpenCL C
    .language_version:
      - 2
      - 0
    .max_flat_workgroup_size: 56
    .name:           fft_rtc_fwd_len1960_factors_4_7_2_7_5_wgs_56_tpt_56_halfLds_dp_ip_CI_unitstride_sbrr_dirReg
    .private_segment_fixed_size: 100
    .sgpr_count:     28
    .sgpr_spill_count: 0
    .symbol:         fft_rtc_fwd_len1960_factors_4_7_2_7_5_wgs_56_tpt_56_halfLds_dp_ip_CI_unitstride_sbrr_dirReg.kd
    .uniform_work_group_size: 1
    .uses_dynamic_stack: false
    .vgpr_count:     256
    .vgpr_spill_count: 52
    .wavefront_size: 32
    .workgroup_processor_mode: 1
amdhsa.target:   amdgcn-amd-amdhsa--gfx1100
amdhsa.version:
  - 1
  - 2
...

	.end_amdgpu_metadata
